;; amdgpu-corpus repo=ROCm/rocFFT kind=compiled arch=gfx906 opt=O3
	.text
	.amdgcn_target "amdgcn-amd-amdhsa--gfx906"
	.amdhsa_code_object_version 6
	.protected	fft_rtc_back_len578_factors_17_17_2_wgs_238_tpt_34_halfLds_dp_op_CI_CI_unitstride_sbrr_R2C_dirReg ; -- Begin function fft_rtc_back_len578_factors_17_17_2_wgs_238_tpt_34_halfLds_dp_op_CI_CI_unitstride_sbrr_R2C_dirReg
	.globl	fft_rtc_back_len578_factors_17_17_2_wgs_238_tpt_34_halfLds_dp_op_CI_CI_unitstride_sbrr_R2C_dirReg
	.p2align	8
	.type	fft_rtc_back_len578_factors_17_17_2_wgs_238_tpt_34_halfLds_dp_op_CI_CI_unitstride_sbrr_R2C_dirReg,@function
fft_rtc_back_len578_factors_17_17_2_wgs_238_tpt_34_halfLds_dp_op_CI_CI_unitstride_sbrr_R2C_dirReg: ; @fft_rtc_back_len578_factors_17_17_2_wgs_238_tpt_34_halfLds_dp_op_CI_CI_unitstride_sbrr_R2C_dirReg
; %bb.0:
	s_load_dwordx4 s[8:11], s[4:5], 0x58
	s_load_dwordx4 s[12:15], s[4:5], 0x0
	;; [unrolled: 1-line block ×3, first 2 shown]
	v_mul_u32_u24_e32 v1, 0x788, v0
	v_lshrrev_b32_e32 v1, 16, v1
	v_mad_u64_u32 v[3:4], s[0:1], s6, 7, v[1:2]
	v_mov_b32_e32 v5, 0
	v_mov_b32_e32 v1, 0
	;; [unrolled: 1-line block ×3, first 2 shown]
	s_waitcnt lgkmcnt(0)
	v_cmp_lt_u64_e64 s[0:1], s[14:15], 2
	v_mov_b32_e32 v2, 0
	v_mov_b32_e32 v73, v2
	;; [unrolled: 1-line block ×3, first 2 shown]
	s_and_b64 vcc, exec, s[0:1]
	v_mov_b32_e32 v72, v1
	v_mov_b32_e32 v76, v3
	s_cbranch_vccnz .LBB0_8
; %bb.1:
	s_load_dwordx2 s[0:1], s[4:5], 0x10
	s_add_u32 s2, s18, 8
	s_addc_u32 s3, s19, 0
	s_add_u32 s6, s16, 8
	v_mov_b32_e32 v1, 0
	s_addc_u32 s7, s17, 0
	v_mov_b32_e32 v2, 0
	s_waitcnt lgkmcnt(0)
	s_add_u32 s20, s0, 8
	v_mov_b32_e32 v73, v2
	v_mov_b32_e32 v8, v4
	s_addc_u32 s21, s1, 0
	s_mov_b64 s[22:23], 1
	v_mov_b32_e32 v72, v1
	v_mov_b32_e32 v7, v3
.LBB0_2:                                ; =>This Inner Loop Header: Depth=1
	s_load_dwordx2 s[24:25], s[20:21], 0x0
                                        ; implicit-def: $vgpr76_vgpr77
	s_waitcnt lgkmcnt(0)
	v_or_b32_e32 v6, s25, v8
	v_cmp_ne_u64_e32 vcc, 0, v[5:6]
	s_and_saveexec_b64 s[0:1], vcc
	s_xor_b64 s[26:27], exec, s[0:1]
	s_cbranch_execz .LBB0_4
; %bb.3:                                ;   in Loop: Header=BB0_2 Depth=1
	v_cvt_f32_u32_e32 v4, s24
	v_cvt_f32_u32_e32 v6, s25
	s_sub_u32 s0, 0, s24
	s_subb_u32 s1, 0, s25
	v_mac_f32_e32 v4, 0x4f800000, v6
	v_rcp_f32_e32 v4, v4
	v_mul_f32_e32 v4, 0x5f7ffffc, v4
	v_mul_f32_e32 v6, 0x2f800000, v4
	v_trunc_f32_e32 v6, v6
	v_mac_f32_e32 v4, 0xcf800000, v6
	v_cvt_u32_f32_e32 v6, v6
	v_cvt_u32_f32_e32 v4, v4
	v_mul_lo_u32 v9, s0, v6
	v_mul_hi_u32 v10, s0, v4
	v_mul_lo_u32 v12, s1, v4
	v_mul_lo_u32 v11, s0, v4
	v_add_u32_e32 v9, v10, v9
	v_add_u32_e32 v9, v9, v12
	v_mul_hi_u32 v10, v4, v11
	v_mul_lo_u32 v12, v4, v9
	v_mul_hi_u32 v14, v4, v9
	v_mul_hi_u32 v13, v6, v11
	v_mul_lo_u32 v11, v6, v11
	v_mul_hi_u32 v15, v6, v9
	v_add_co_u32_e32 v10, vcc, v10, v12
	v_addc_co_u32_e32 v12, vcc, 0, v14, vcc
	v_mul_lo_u32 v9, v6, v9
	v_add_co_u32_e32 v10, vcc, v10, v11
	v_addc_co_u32_e32 v10, vcc, v12, v13, vcc
	v_addc_co_u32_e32 v11, vcc, 0, v15, vcc
	v_add_co_u32_e32 v9, vcc, v10, v9
	v_addc_co_u32_e32 v10, vcc, 0, v11, vcc
	v_add_co_u32_e32 v4, vcc, v4, v9
	v_addc_co_u32_e32 v6, vcc, v6, v10, vcc
	v_mul_lo_u32 v9, s0, v6
	v_mul_hi_u32 v10, s0, v4
	v_mul_lo_u32 v11, s1, v4
	v_mul_lo_u32 v12, s0, v4
	v_add_u32_e32 v9, v10, v9
	v_add_u32_e32 v9, v9, v11
	v_mul_lo_u32 v13, v4, v9
	v_mul_hi_u32 v14, v4, v12
	v_mul_hi_u32 v15, v4, v9
	;; [unrolled: 1-line block ×3, first 2 shown]
	v_mul_lo_u32 v12, v6, v12
	v_mul_hi_u32 v10, v6, v9
	v_add_co_u32_e32 v13, vcc, v14, v13
	v_addc_co_u32_e32 v14, vcc, 0, v15, vcc
	v_mul_lo_u32 v9, v6, v9
	v_add_co_u32_e32 v12, vcc, v13, v12
	v_addc_co_u32_e32 v11, vcc, v14, v11, vcc
	v_addc_co_u32_e32 v10, vcc, 0, v10, vcc
	v_add_co_u32_e32 v9, vcc, v11, v9
	v_addc_co_u32_e32 v10, vcc, 0, v10, vcc
	v_add_co_u32_e32 v4, vcc, v4, v9
	v_addc_co_u32_e32 v6, vcc, v6, v10, vcc
	v_mad_u64_u32 v[9:10], s[0:1], v7, v6, 0
	v_mul_hi_u32 v11, v7, v4
	v_add_co_u32_e32 v13, vcc, v11, v9
	v_addc_co_u32_e32 v14, vcc, 0, v10, vcc
	v_mad_u64_u32 v[9:10], s[0:1], v8, v4, 0
	v_mad_u64_u32 v[11:12], s[0:1], v8, v6, 0
	v_add_co_u32_e32 v4, vcc, v13, v9
	v_addc_co_u32_e32 v4, vcc, v14, v10, vcc
	v_addc_co_u32_e32 v6, vcc, 0, v12, vcc
	v_add_co_u32_e32 v4, vcc, v4, v11
	v_addc_co_u32_e32 v6, vcc, 0, v6, vcc
	v_mul_lo_u32 v11, s25, v4
	v_mul_lo_u32 v12, s24, v6
	v_mad_u64_u32 v[9:10], s[0:1], s24, v4, 0
	v_add3_u32 v10, v10, v12, v11
	v_sub_u32_e32 v11, v8, v10
	v_mov_b32_e32 v12, s25
	v_sub_co_u32_e32 v9, vcc, v7, v9
	v_subb_co_u32_e64 v11, s[0:1], v11, v12, vcc
	v_subrev_co_u32_e64 v12, s[0:1], s24, v9
	v_subbrev_co_u32_e64 v11, s[0:1], 0, v11, s[0:1]
	v_cmp_le_u32_e64 s[0:1], s25, v11
	v_cndmask_b32_e64 v13, 0, -1, s[0:1]
	v_cmp_le_u32_e64 s[0:1], s24, v12
	v_cndmask_b32_e64 v12, 0, -1, s[0:1]
	v_cmp_eq_u32_e64 s[0:1], s25, v11
	v_cndmask_b32_e64 v11, v13, v12, s[0:1]
	v_add_co_u32_e64 v12, s[0:1], 2, v4
	v_addc_co_u32_e64 v13, s[0:1], 0, v6, s[0:1]
	v_add_co_u32_e64 v14, s[0:1], 1, v4
	v_addc_co_u32_e64 v15, s[0:1], 0, v6, s[0:1]
	v_subb_co_u32_e32 v10, vcc, v8, v10, vcc
	v_cmp_ne_u32_e64 s[0:1], 0, v11
	v_cmp_le_u32_e32 vcc, s25, v10
	v_cndmask_b32_e64 v11, v15, v13, s[0:1]
	v_cndmask_b32_e64 v13, 0, -1, vcc
	v_cmp_le_u32_e32 vcc, s24, v9
	v_cndmask_b32_e64 v9, 0, -1, vcc
	v_cmp_eq_u32_e32 vcc, s25, v10
	v_cndmask_b32_e32 v9, v13, v9, vcc
	v_cmp_ne_u32_e32 vcc, 0, v9
	v_cndmask_b32_e32 v77, v6, v11, vcc
	v_cndmask_b32_e64 v6, v14, v12, s[0:1]
	v_cndmask_b32_e32 v76, v4, v6, vcc
.LBB0_4:                                ;   in Loop: Header=BB0_2 Depth=1
	s_andn2_saveexec_b64 s[0:1], s[26:27]
	s_cbranch_execz .LBB0_6
; %bb.5:                                ;   in Loop: Header=BB0_2 Depth=1
	v_cvt_f32_u32_e32 v4, s24
	s_sub_i32 s26, 0, s24
	v_mov_b32_e32 v77, v5
	v_rcp_iflag_f32_e32 v4, v4
	v_mul_f32_e32 v4, 0x4f7ffffe, v4
	v_cvt_u32_f32_e32 v4, v4
	v_mul_lo_u32 v6, s26, v4
	v_mul_hi_u32 v6, v4, v6
	v_add_u32_e32 v4, v4, v6
	v_mul_hi_u32 v4, v7, v4
	v_mul_lo_u32 v6, v4, s24
	v_add_u32_e32 v9, 1, v4
	v_sub_u32_e32 v6, v7, v6
	v_subrev_u32_e32 v10, s24, v6
	v_cmp_le_u32_e32 vcc, s24, v6
	v_cndmask_b32_e32 v6, v6, v10, vcc
	v_cndmask_b32_e32 v4, v4, v9, vcc
	v_add_u32_e32 v9, 1, v4
	v_cmp_le_u32_e32 vcc, s24, v6
	v_cndmask_b32_e32 v76, v4, v9, vcc
.LBB0_6:                                ;   in Loop: Header=BB0_2 Depth=1
	s_or_b64 exec, exec, s[0:1]
	v_mul_lo_u32 v4, v77, s24
	v_mul_lo_u32 v6, v76, s25
	v_mad_u64_u32 v[9:10], s[0:1], v76, s24, 0
	s_load_dwordx2 s[0:1], s[6:7], 0x0
	s_load_dwordx2 s[24:25], s[2:3], 0x0
	v_add3_u32 v4, v10, v6, v4
	v_sub_co_u32_e32 v6, vcc, v7, v9
	v_subb_co_u32_e32 v4, vcc, v8, v4, vcc
	s_waitcnt lgkmcnt(0)
	v_mul_lo_u32 v7, s0, v4
	v_mul_lo_u32 v8, s1, v6
	v_mad_u64_u32 v[1:2], s[0:1], s0, v6, v[1:2]
	s_add_u32 s22, s22, 1
	s_addc_u32 s23, s23, 0
	s_add_u32 s2, s2, 8
	v_mul_lo_u32 v4, s24, v4
	v_mul_lo_u32 v9, s25, v6
	v_mad_u64_u32 v[72:73], s[0:1], s24, v6, v[72:73]
	v_add3_u32 v2, v8, v2, v7
	s_addc_u32 s3, s3, 0
	v_mov_b32_e32 v6, s14
	s_add_u32 s6, s6, 8
	v_mov_b32_e32 v7, s15
	s_addc_u32 s7, s7, 0
	v_cmp_ge_u64_e32 vcc, s[22:23], v[6:7]
	s_add_u32 s20, s20, 8
	v_add3_u32 v73, v9, v73, v4
	s_addc_u32 s21, s21, 0
	s_cbranch_vccnz .LBB0_8
; %bb.7:                                ;   in Loop: Header=BB0_2 Depth=1
	v_mov_b32_e32 v7, v76
	v_mov_b32_e32 v8, v77
	s_branch .LBB0_2
.LBB0_8:
	s_mov_b32 s0, 0x24924925
	v_mul_hi_u32 v4, v3, s0
	s_load_dwordx2 s[4:5], s[4:5], 0x28
	s_lshl_b64 s[6:7], s[14:15], 3
	s_add_u32 s2, s18, s6
	v_sub_u32_e32 v5, v3, v4
	v_lshrrev_b32_e32 v5, 1, v5
	v_add_u32_e32 v4, v5, v4
	v_lshrrev_b32_e32 v4, 2, v4
	v_mul_lo_u32 v4, v4, 7
	s_waitcnt lgkmcnt(0)
	v_cmp_gt_u64_e64 s[0:1], s[4:5], v[76:77]
	v_cmp_le_u64_e32 vcc, s[4:5], v[76:77]
	s_addc_u32 s3, s19, s7
	v_sub_u32_e32 v3, v3, v4
                                        ; implicit-def: $vgpr74
                                        ; implicit-def: $vgpr85
                                        ; implicit-def: $vgpr84
                                        ; implicit-def: $vgpr83
                                        ; implicit-def: $vgpr82
                                        ; implicit-def: $vgpr81
                                        ; implicit-def: $vgpr80
                                        ; implicit-def: $vgpr79
                                        ; implicit-def: $vgpr78
	s_and_saveexec_b64 s[4:5], vcc
	s_xor_b64 s[4:5], exec, s[4:5]
	s_cbranch_execz .LBB0_10
; %bb.9:
	s_mov_b32 s14, 0x7878788
	v_mul_hi_u32 v1, v0, s14
	v_mul_u32_u24_e32 v1, 34, v1
	v_sub_u32_e32 v74, v0, v1
	v_add_u32_e32 v85, 34, v74
	v_add_u32_e32 v84, 0x44, v74
	v_add_u32_e32 v83, 0x66, v74
	v_add_u32_e32 v82, 0x88, v74
	v_add_u32_e32 v81, 0xaa, v74
	v_add_u32_e32 v80, 0xcc, v74
	v_add_u32_e32 v79, 0xee, v74
	v_add_u32_e32 v78, 0x110, v74
                                        ; implicit-def: $vgpr0
                                        ; implicit-def: $vgpr1_vgpr2
.LBB0_10:
	s_or_saveexec_b64 s[4:5], s[4:5]
	v_mul_u32_u24_e32 v3, 0x243, v3
	v_lshlrev_b32_e32 v75, 4, v3
	s_xor_b64 exec, exec, s[4:5]
	s_cbranch_execz .LBB0_12
; %bb.11:
	s_add_u32 s6, s16, s6
	s_addc_u32 s7, s17, s7
	s_load_dwordx2 s[6:7], s[6:7], 0x0
	s_mov_b32 s14, 0x7878788
	v_mul_hi_u32 v5, v0, s14
	s_waitcnt lgkmcnt(0)
	v_mul_lo_u32 v6, s7, v76
	v_mul_lo_u32 v7, s6, v77
	v_mad_u64_u32 v[3:4], s[6:7], s6, v76, 0
	v_mul_u32_u24_e32 v5, 34, v5
	v_sub_u32_e32 v74, v0, v5
	v_add3_u32 v4, v4, v7, v6
	v_lshlrev_b64 v[3:4], 4, v[3:4]
	v_mov_b32_e32 v0, s9
	v_add_co_u32_e32 v3, vcc, s8, v3
	v_addc_co_u32_e32 v4, vcc, v0, v4, vcc
	v_lshlrev_b64 v[0:1], 4, v[1:2]
	v_lshlrev_b32_e32 v78, 4, v74
	v_add_co_u32_e32 v0, vcc, v3, v0
	v_addc_co_u32_e32 v1, vcc, v4, v1, vcc
	v_add_co_u32_e32 v56, vcc, v0, v78
	v_addc_co_u32_e32 v57, vcc, 0, v1, vcc
	s_movk_i32 s6, 0x1000
	v_add_co_u32_e32 v68, vcc, s6, v56
	v_addc_co_u32_e32 v69, vcc, 0, v57, vcc
	v_add_co_u32_e32 v70, vcc, 0x2000, v56
	global_load_dwordx4 v[0:3], v[56:57], off
	global_load_dwordx4 v[4:7], v[56:57], off offset:544
	global_load_dwordx4 v[8:11], v[56:57], off offset:1088
	;; [unrolled: 1-line block ×13, first 2 shown]
	v_addc_co_u32_e32 v71, vcc, 0, v57, vcc
	global_load_dwordx4 v[56:59], v[68:69], off offset:3520
	global_load_dwordx4 v[60:63], v[68:69], off offset:4064
	;; [unrolled: 1-line block ×3, first 2 shown]
	v_add_u32_e32 v85, 34, v74
	v_add_u32_e32 v84, 0x44, v74
	;; [unrolled: 1-line block ×7, first 2 shown]
	v_add3_u32 v68, 0, v75, v78
	v_add_u32_e32 v78, 0x110, v74
	s_waitcnt vmcnt(16)
	ds_write_b128 v68, v[0:3]
	s_waitcnt vmcnt(15)
	ds_write_b128 v68, v[4:7] offset:544
	s_waitcnt vmcnt(14)
	ds_write_b128 v68, v[8:11] offset:1088
	;; [unrolled: 2-line block ×16, first 2 shown]
.LBB0_12:
	s_or_b64 exec, exec, s[4:5]
	v_add_u32_e32 v150, 0, v75
	v_lshlrev_b32_e32 v152, 4, v74
	v_add_u32_e32 v151, v150, v152
	s_load_dwordx2 s[4:5], s[2:3], 0x0
	s_waitcnt lgkmcnt(0)
	s_barrier
	v_add3_u32 v153, 0, v152, v75
	ds_read_b128 v[0:3], v151
	ds_read_b128 v[4:7], v153 offset:544
	ds_read_b128 v[8:11], v153 offset:1088
	;; [unrolled: 1-line block ×3, first 2 shown]
	s_mov_b32 s34, 0x5d8e7cdc
	s_mov_b32 s35, 0xbfd71e95
	;; [unrolled: 1-line block ×3, first 2 shown]
	s_waitcnt lgkmcnt(2)
	v_add_f64 v[16:17], v[0:1], v[4:5]
	v_add_f64 v[18:19], v[2:3], v[6:7]
	s_mov_b32 s26, 0x2a9d6da3
	s_mov_b32 s14, 0x923c349f
	;; [unrolled: 1-line block ×6, first 2 shown]
	s_waitcnt lgkmcnt(1)
	v_add_f64 v[16:17], v[16:17], v[8:9]
	v_add_f64 v[18:19], v[18:19], v[10:11]
	ds_read_b128 v[20:23], v153 offset:2720
	s_mov_b32 s18, 0x7c9e640b
	s_mov_b32 s20, 0x2b2883cd
	s_mov_b32 s6, 0xeb564b22
	s_mov_b32 s8, 0x3259b75e
	s_mov_b32 s16, 0xc61f0d01
	s_waitcnt lgkmcnt(1)
	v_add_f64 v[24:25], v[16:17], v[12:13]
	v_add_f64 v[26:27], v[18:19], v[14:15]
	ds_read_b128 v[16:19], v153 offset:2176
	s_mov_b32 s24, 0x6c9a05f6
	s_mov_b32 s28, 0x6ed5f1bb
	s_mov_b32 s42, 0x4363dd80
	s_mov_b32 s52, 0xacd6c6b4
	s_mov_b32 s23, 0x3fe7a5f6
	;; [unrolled: 9-line block ×3, first 2 shown]
	v_add_f64 v[32:33], v[24:25], v[20:21]
	v_add_f64 v[34:35], v[26:27], v[22:23]
	ds_read_b128 v[24:27], v153 offset:3264
	s_mov_b32 s25, 0xbfe9895b
	s_mov_b32 s29, 0xbfe348c8
	s_mov_b32 s43, 0xbfe0d888
	s_mov_b32 s53, 0xbfc7851a
	s_mov_b32 s46, 0x910ea3b9
	s_waitcnt lgkmcnt(0)
	v_add_f64 v[36:37], v[32:33], v[24:25]
	v_add_f64 v[38:39], v[34:35], v[26:27]
	ds_read_b128 v[32:35], v153 offset:4352
	ds_read_b128 v[46:49], v153 offset:4896
	;; [unrolled: 1-line block ×8, first 2 shown]
	s_waitcnt lgkmcnt(5)
	v_add_f64 v[42:43], v[28:29], v[58:59]
	s_waitcnt lgkmcnt(4)
	v_add_f64 v[54:55], v[24:25], -v[86:87]
	s_waitcnt lgkmcnt(3)
	v_add_f64 v[62:63], v[20:21], v[94:95]
	v_add_f64 v[40:41], v[34:35], v[48:49]
	;; [unrolled: 1-line block ×4, first 2 shown]
	v_add_f64 v[44:45], v[34:35], -v[48:49]
	v_add_f64 v[64:65], v[22:23], v[96:97]
	v_add_f64 v[70:71], v[22:23], -v[96:97]
	s_waitcnt lgkmcnt(2)
	v_add_f64 v[68:69], v[16:17], v[106:107]
	v_add_f64 v[66:67], v[16:17], -v[106:107]
	s_waitcnt lgkmcnt(1)
	v_add_f64 v[90:91], v[12:13], v[110:111]
	v_add_f64 v[50:51], v[36:37], v[32:33]
	;; [unrolled: 1-line block ×4, first 2 shown]
	v_add_f64 v[38:39], v[32:33], -v[46:47]
	ds_read_b128 v[118:121], v153 offset:8704
	v_add_f64 v[98:99], v[14:15], v[112:113]
	v_add_f64 v[100:101], v[14:15], -v[112:113]
	s_waitcnt lgkmcnt(1)
	v_add_f64 v[102:103], v[10:11], v[116:117]
	v_add_f64 v[32:33], v[50:51], v[46:47]
	;; [unrolled: 1-line block ×3, first 2 shown]
	v_add_f64 v[46:47], v[28:29], -v[58:59]
	v_add_f64 v[52:53], v[24:25], v[86:87]
	v_add_f64 v[48:49], v[30:31], v[60:61]
	v_add_f64 v[50:51], v[30:31], -v[60:61]
	s_waitcnt lgkmcnt(0)
	v_add_f64 v[14:15], v[6:7], -v[120:121]
	v_add_f64 v[104:105], v[10:11], -v[116:117]
	v_add_f64 v[24:25], v[32:33], v[58:59]
	v_add_f64 v[28:29], v[34:35], v[60:61]
	v_add_f64 v[60:61], v[20:21], -v[94:95]
	v_add_f64 v[56:57], v[26:27], v[88:89]
	v_add_f64 v[58:59], v[26:27], -v[88:89]
	v_add_f64 v[92:93], v[18:19], -v[108:109]
	v_mul_f64 v[26:27], v[14:15], s[24:25]
	s_mov_b32 s54, 0x7faef3
	v_add_f64 v[20:21], v[24:25], v[86:87]
	v_add_f64 v[22:23], v[28:29], v[88:89]
	v_add_f64 v[86:87], v[12:13], -v[110:111]
	v_add_f64 v[88:89], v[18:19], v[108:109]
	v_add_f64 v[18:19], v[4:5], -v[118:119]
	v_mul_f64 v[24:25], v[14:15], s[14:15]
	s_mov_b32 s47, 0xbfeb34fa
	s_mov_b32 s55, 0xbfef7484
	v_add_f64 v[12:13], v[20:21], v[94:95]
	v_add_f64 v[16:17], v[22:23], v[96:97]
	;; [unrolled: 1-line block ×3, first 2 shown]
	v_add_f64 v[94:95], v[8:9], -v[114:115]
	v_mul_f64 v[20:21], v[14:15], s[18:19]
	v_mul_f64 v[22:23], v[14:15], s[6:7]
	s_mov_b32 s49, 0x3fd71e95
	s_mov_b32 s48, s34
	v_add_f64 v[8:9], v[12:13], v[106:107]
	v_add_f64 v[10:11], v[16:17], v[108:109]
	;; [unrolled: 1-line block ×3, first 2 shown]
	v_mul_f64 v[4:5], v[14:15], s[34:35]
	v_add_f64 v[16:17], v[6:7], v[120:121]
	v_mul_f64 v[6:7], v[14:15], s[26:27]
	s_mov_b32 s41, 0x3feca52d
	s_mov_b32 s40, s18
	v_add_f64 v[8:9], v[8:9], v[110:111]
	v_add_f64 v[10:11], v[10:11], v[112:113]
	v_fma_f64 v[108:109], v[12:13], s[16:17], v[24:25]
	v_fma_f64 v[28:29], v[12:13], s[30:31], v[4:5]
	v_fma_f64 v[30:31], v[12:13], s[30:31], -v[4:5]
	v_fma_f64 v[32:33], v[12:13], s[22:23], v[6:7]
	v_mul_f64 v[122:123], v[16:17], s[8:9]
	v_mul_f64 v[130:131], v[16:17], s[28:29]
	v_add_f64 v[4:5], v[8:9], v[114:115]
	v_add_f64 v[8:9], v[10:11], v[116:117]
	v_fma_f64 v[10:11], v[12:13], s[22:23], -v[6:7]
	v_mul_f64 v[114:115], v[16:17], s[30:31]
	s_mov_b32 s37, 0x3fefdd0d
	s_mov_b32 s36, s6
	;; [unrolled: 1-line block ×4, first 2 shown]
	v_add_f64 v[4:5], v[4:5], v[118:119]
	v_add_f64 v[6:7], v[8:9], v[120:121]
	v_fma_f64 v[8:9], v[12:13], s[16:17], -v[24:25]
	v_mul_f64 v[24:25], v[14:15], s[42:43]
	v_mul_f64 v[14:15], v[14:15], s[52:53]
	;; [unrolled: 1-line block ×3, first 2 shown]
	v_fma_f64 v[34:35], v[12:13], s[20:21], v[20:21]
	v_fma_f64 v[20:21], v[12:13], s[20:21], -v[20:21]
	v_fma_f64 v[106:107], v[12:13], s[8:9], v[22:23]
	v_fma_f64 v[22:23], v[12:13], s[8:9], -v[22:23]
	;; [unrolled: 2-line block ×5, first 2 shown]
	v_mul_f64 v[14:15], v[16:17], s[22:23]
	v_fma_f64 v[116:117], v[18:19], s[48:49], v[114:115]
	v_fma_f64 v[124:125], v[18:19], s[40:41], v[118:119]
	v_mul_f64 v[126:127], v[16:17], s[16:17]
	v_fma_f64 v[128:129], v[18:19], s[36:37], v[122:123]
	v_fma_f64 v[122:123], v[18:19], s[6:7], v[122:123]
	v_mul_f64 v[136:137], v[16:17], s[46:47]
	v_mul_f64 v[16:17], v[16:17], s[54:55]
	v_fma_f64 v[138:139], v[18:19], s[50:51], v[130:131]
	v_fma_f64 v[140:141], v[18:19], s[24:25], v[130:131]
	v_add_f64 v[158:159], v[0:1], v[10:11]
	v_add_f64 v[130:131], v[0:1], v[8:9]
	v_mul_f64 v[8:9], v[104:105], s[26:27]
	v_mul_f64 v[10:11], v[102:103], s[22:23]
	s_mov_b32 s39, 0x3fe58eea
	s_mov_b32 s38, s26
	;; [unrolled: 1-line block ×8, first 2 shown]
	v_fma_f64 v[114:115], v[18:19], s[34:35], v[114:115]
	v_fma_f64 v[120:121], v[18:19], s[38:39], v[14:15]
	;; [unrolled: 1-line block ×10, first 2 shown]
	v_add_f64 v[18:19], v[0:1], v[28:29]
	v_add_f64 v[146:147], v[2:3], v[116:117]
	;; [unrolled: 1-line block ×9, first 2 shown]
	v_fma_f64 v[22:23], v[96:97], s[22:23], v[8:9]
	v_fma_f64 v[26:27], v[94:95], s[38:39], v[10:11]
	v_mul_f64 v[138:139], v[100:101], s[18:19]
	v_mul_f64 v[140:141], v[98:99], s[20:21]
	v_add_f64 v[154:155], v[2:3], v[114:115]
	v_add_f64 v[28:29], v[0:1], v[108:109]
	;; [unrolled: 1-line block ×7, first 2 shown]
	v_fma_f64 v[24:25], v[90:91], s[20:21], v[138:139]
	v_fma_f64 v[26:27], v[86:87], s[40:41], v[140:141]
	v_mul_f64 v[134:135], v[92:93], s[6:7]
	v_mul_f64 v[136:137], v[88:89], s[8:9]
	v_add_f64 v[148:149], v[0:1], v[30:31]
	v_add_f64 v[32:33], v[0:1], v[32:33]
	;; [unrolled: 1-line block ×16, first 2 shown]
	v_fma_f64 v[0:1], v[96:97], s[22:23], -v[8:9]
	v_fma_f64 v[2:3], v[94:95], s[26:27], v[10:11]
	v_add_f64 v[8:9], v[24:25], v[18:19]
	v_add_f64 v[10:11], v[26:27], v[22:23]
	v_fma_f64 v[12:13], v[68:69], s[8:9], v[134:135]
	v_fma_f64 v[16:17], v[66:67], s[36:37], v[136:137]
	v_mul_f64 v[18:19], v[70:71], s[14:15]
	v_mul_f64 v[22:23], v[64:65], s[16:17]
	v_add_f64 v[0:1], v[0:1], v[148:149]
	v_add_f64 v[2:3], v[2:3], v[154:155]
	v_fma_f64 v[24:25], v[90:91], s[20:21], -v[138:139]
	v_fma_f64 v[26:27], v[86:87], s[18:19], v[140:141]
	v_add_f64 v[8:9], v[12:13], v[8:9]
	v_add_f64 v[10:11], v[16:17], v[10:11]
	v_fma_f64 v[12:13], v[62:63], s[16:17], v[18:19]
	v_fma_f64 v[16:17], v[60:61], s[44:45], v[22:23]
	v_mul_f64 v[138:139], v[58:59], s[24:25]
	v_mul_f64 v[140:141], v[56:57], s[28:29]
	v_add_f64 v[0:1], v[24:25], v[0:1]
	v_add_f64 v[2:3], v[26:27], v[2:3]
	;; [unrolled: 10-line block ×46, first 2 shown]
	v_fma_f64 v[136:137], v[52:53], s[54:55], -v[146:147]
	v_fma_f64 v[138:139], v[54:55], s[52:53], v[148:149]
	v_add_f64 v[134:135], v[142:143], v[134:135]
	v_add_f64 v[140:141], v[144:145], v[140:141]
	v_fma_f64 v[142:143], v[96:97], s[30:31], v[104:105]
	v_fma_f64 v[144:145], v[94:95], s[34:35], v[102:103]
	v_mul_f64 v[100:101], v[100:101], s[42:43]
	v_mul_f64 v[98:99], v[98:99], s[46:47]
	v_fma_f64 v[96:97], v[96:97], s[30:31], -v[104:105]
	v_fma_f64 v[94:95], v[94:95], s[48:49], v[102:103]
	v_add_f64 v[114:115], v[136:137], v[114:115]
	v_add_f64 v[116:117], v[138:139], v[116:117]
	v_fma_f64 v[104:105], v[42:43], s[22:23], -v[158:159]
	v_add_f64 v[108:109], v[142:143], v[108:109]
	v_add_f64 v[110:111], v[144:145], v[110:111]
	v_fma_f64 v[136:137], v[90:91], s[46:47], v[100:101]
	v_fma_f64 v[138:139], v[86:87], s[56:57], v[98:99]
	v_mul_f64 v[92:93], v[92:93], s[38:39]
	v_add_f64 v[96:97], v[96:97], v[112:113]
	v_mul_f64 v[88:89], v[88:89], s[22:23]
	v_fma_f64 v[90:91], v[90:91], s[46:47], -v[100:101]
	v_add_f64 v[94:95], v[94:95], v[106:107]
	v_fma_f64 v[86:87], v[86:87], s[42:43], v[98:99]
	v_add_f64 v[100:101], v[104:105], v[114:115]
	v_add_f64 v[102:103], v[136:137], v[108:109]
	;; [unrolled: 1-line block ×3, first 2 shown]
	v_fma_f64 v[98:99], v[68:69], s[22:23], v[92:93]
	v_fma_f64 v[106:107], v[66:67], s[26:27], v[88:89]
	v_add_f64 v[90:91], v[90:91], v[96:97]
	v_mul_f64 v[70:71], v[70:71], s[24:25]
	v_fma_f64 v[68:69], v[68:69], s[22:23], -v[92:93]
	v_mul_f64 v[64:65], v[64:65], s[28:29]
	v_add_f64 v[86:87], v[86:87], v[94:95]
	v_fma_f64 v[66:67], v[66:67], s[38:39], v[88:89]
	v_add_f64 v[88:89], v[98:99], v[102:103]
	v_add_f64 v[94:95], v[106:107], v[104:105]
	v_mul_f64 v[58:59], v[58:59], s[40:41]
	v_fma_f64 v[96:97], v[62:63], s[28:29], v[70:71]
	v_add_f64 v[68:69], v[68:69], v[90:91]
	v_fma_f64 v[90:91], v[60:61], s[50:51], v[64:65]
	v_fma_f64 v[62:63], v[62:63], s[28:29], -v[70:71]
	v_add_f64 v[66:67], v[66:67], v[86:87]
	v_mul_f64 v[56:57], v[56:57], s[20:21]
	v_fma_f64 v[60:61], v[60:61], s[24:25], v[64:65]
	v_mul_f64 v[50:51], v[50:51], s[14:15]
	v_add_f64 v[70:71], v[96:97], v[88:89]
	v_mul_f64 v[48:49], v[48:49], s[16:17]
	v_add_f64 v[86:87], v[90:91], v[94:95]
	v_add_f64 v[62:63], v[62:63], v[68:69]
	v_fma_f64 v[68:69], v[52:53], s[20:21], v[58:59]
	v_fma_f64 v[90:91], v[54:55], s[18:19], v[56:57]
	v_add_f64 v[60:61], v[60:61], v[66:67]
	v_fma_f64 v[52:53], v[52:53], s[20:21], -v[58:59]
	v_fma_f64 v[54:55], v[54:55], s[40:41], v[56:57]
	v_fma_f64 v[92:93], v[46:47], s[38:39], v[160:161]
	v_mul_f64 v[88:89], v[44:45], s[14:15]
	v_mul_f64 v[44:45], v[44:45], s[36:37]
	v_add_f64 v[56:57], v[68:69], v[70:71]
	v_mul_f64 v[68:69], v[40:41], s[16:17]
	v_mul_f64 v[40:41], v[40:41], s[8:9]
	v_add_f64 v[52:53], v[52:53], v[62:63]
	v_fma_f64 v[62:63], v[42:43], s[16:17], v[50:51]
	v_add_f64 v[54:55], v[54:55], v[60:61]
	v_fma_f64 v[60:61], v[46:47], s[44:45], v[48:49]
	v_fma_f64 v[42:43], v[42:43], s[16:17], -v[50:51]
	v_fma_f64 v[46:47], v[46:47], s[14:15], v[48:49]
	v_add_f64 v[66:67], v[90:91], v[86:87]
	v_fma_f64 v[58:59], v[36:37], s[16:17], v[88:89]
	v_fma_f64 v[50:51], v[38:39], s[44:45], v[68:69]
	v_fma_f64 v[48:49], v[36:37], s[16:17], -v[88:89]
	v_fma_f64 v[70:71], v[36:37], s[8:9], -v[44:45]
	v_fma_f64 v[86:87], v[38:39], s[36:37], v[40:41]
	v_add_f64 v[52:53], v[42:43], v[52:53]
	v_add_f64 v[54:55], v[46:47], v[54:55]
	;; [unrolled: 1-line block ×3, first 2 shown]
	v_fma_f64 v[68:69], v[38:39], s[14:15], v[68:69]
	v_add_f64 v[56:57], v[62:63], v[56:57]
	v_add_f64 v[60:61], v[60:61], v[66:67]
	v_fma_f64 v[62:63], v[36:37], s[8:9], v[44:45]
	v_fma_f64 v[66:67], v[38:39], s[6:7], v[40:41]
	s_movk_i32 s2, 0x110
	v_add_f64 v[36:37], v[58:59], v[134:135]
	v_add_f64 v[38:39], v[50:51], v[140:141]
	;; [unrolled: 1-line block ×5, first 2 shown]
	v_mad_u32_u24 v52, v74, s2, v150
	v_subrev_u32_e32 v87, 17, v74
	v_cmp_gt_u32_e64 s[2:3], 17, v74
	v_add_f64 v[42:43], v[68:69], v[64:65]
	v_add_f64 v[44:45], v[62:63], v[56:57]
	;; [unrolled: 1-line block ×3, first 2 shown]
	s_barrier
	ds_write_b128 v52, v[4:7]
	ds_write_b128 v52, v[8:11] offset:16
	ds_write_b128 v52, v[16:19] offset:32
	;; [unrolled: 1-line block ×16, first 2 shown]
	v_cndmask_b32_e64 v0, v87, v74, s[2:3]
	v_lshlrev_b32_e32 v88, 4, v0
	v_mov_b32_e32 v89, 0
	v_lshlrev_b64 v[0:1], 4, v[88:89]
	v_mov_b32_e32 v2, s13
	v_add_co_u32_e32 v60, vcc, s12, v0
	v_addc_co_u32_e32 v61, vcc, v2, v1, vcc
	s_waitcnt lgkmcnt(0)
	s_barrier
	global_load_dwordx4 v[0:3], v[60:61], off
	global_load_dwordx4 v[4:7], v[60:61], off offset:16
	global_load_dwordx4 v[8:11], v[60:61], off offset:32
	;; [unrolled: 1-line block ×9, first 2 shown]
	v_lshl_add_u32 v160, v85, 4, v150
	ds_read_b128 v[36:39], v160
	v_lshl_add_u32 v158, v84, 4, v150
	ds_read_b128 v[44:47], v153 offset:8704
	ds_read_b128 v[48:51], v158
	global_load_dwordx4 v[56:59], v[60:61], off offset:160
	v_lshl_add_u32 v161, v83, 4, v150
	v_lshl_add_u32 v159, v82, 4, v150
	ds_read_b128 v[52:55], v161
	v_lshl_add_u32 v157, v81, 4, v150
	v_lshl_add_u32 v156, v80, 4, v150
	;; [unrolled: 1-line block ×4, first 2 shown]
	v_cmp_lt_u32_e32 vcc, 16, v74
	s_waitcnt vmcnt(10) lgkmcnt(3)
	v_mul_f64 v[62:63], v[38:39], v[2:3]
	v_mul_f64 v[2:3], v[36:37], v[2:3]
	s_waitcnt vmcnt(9) lgkmcnt(1)
	v_mul_f64 v[64:65], v[50:51], v[6:7]
	v_mul_f64 v[6:7], v[48:49], v[6:7]
	v_fma_f64 v[96:97], v[36:37], v[0:1], v[62:63]
	v_fma_f64 v[98:99], v[38:39], v[0:1], -v[2:3]
	global_load_dwordx4 v[0:3], v[60:61], off offset:176
	v_fma_f64 v[100:101], v[48:49], v[4:5], v[64:65]
	v_fma_f64 v[102:103], v[50:51], v[4:5], -v[6:7]
	ds_read_b128 v[36:39], v159
	ds_read_b128 v[48:51], v157
	;; [unrolled: 1-line block ×3, first 2 shown]
	s_waitcnt vmcnt(9) lgkmcnt(3)
	v_mul_f64 v[62:63], v[54:55], v[10:11]
	v_mul_f64 v[10:11], v[52:53], v[10:11]
	s_waitcnt vmcnt(8) lgkmcnt(2)
	v_mul_f64 v[68:69], v[38:39], v[14:15]
	global_load_dwordx4 v[64:67], v[60:61], off offset:192
	global_load_dwordx4 v[92:95], v[60:61], off offset:208
	s_waitcnt lgkmcnt(0)
	v_add_f64 v[90:91], v[4:5], v[96:97]
	v_add_f64 v[104:105], v[6:7], v[98:99]
	v_mul_f64 v[14:15], v[36:37], v[14:15]
	v_fma_f64 v[108:109], v[52:53], v[8:9], v[62:63]
	v_fma_f64 v[110:111], v[54:55], v[8:9], -v[10:11]
	v_fma_f64 v[112:113], v[36:37], v[12:13], v[68:69]
	s_waitcnt vmcnt(9)
	v_mul_f64 v[70:71], v[50:51], v[18:19]
	v_mul_f64 v[18:19], v[48:49], v[18:19]
	v_add_f64 v[62:63], v[90:91], v[100:101]
	v_add_f64 v[68:69], v[104:105], v[102:103]
	v_fma_f64 v[114:115], v[38:39], v[12:13], -v[14:15]
	global_load_dwordx4 v[36:39], v[60:61], off offset:224
	global_load_dwordx4 v[52:55], v[60:61], off offset:240
	ds_read_b128 v[8:11], v156
	ds_read_b128 v[12:15], v155
	v_fma_f64 v[60:61], v[48:49], v[16:17], v[70:71]
	v_add_f64 v[90:91], v[62:63], v[108:109]
	v_add_f64 v[68:69], v[68:69], v[110:111]
	s_waitcnt vmcnt(10) lgkmcnt(1)
	v_mul_f64 v[104:105], v[10:11], v[22:23]
	v_mul_f64 v[22:23], v[8:9], v[22:23]
	v_fma_f64 v[62:63], v[50:51], v[16:17], -v[18:19]
	ds_read_b128 v[48:51], v154
	v_add_f64 v[16:17], v[90:91], v[112:113]
	v_add_f64 v[18:19], v[68:69], v[114:115]
	v_fma_f64 v[68:69], v[8:9], v[20:21], v[104:105]
	s_waitcnt vmcnt(9) lgkmcnt(1)
	v_mul_f64 v[8:9], v[14:15], v[26:27]
	v_fma_f64 v[70:71], v[10:11], v[20:21], -v[22:23]
	v_mul_f64 v[22:23], v[12:13], v[26:27]
	s_waitcnt vmcnt(8) lgkmcnt(0)
	v_mul_f64 v[104:105], v[50:51], v[30:31]
	v_mul_f64 v[30:31], v[48:49], v[30:31]
	v_add_f64 v[26:27], v[16:17], v[60:61]
	v_add_f64 v[90:91], v[18:19], v[62:63]
	ds_read_b128 v[18:21], v153 offset:4896
	v_fma_f64 v[10:11], v[12:13], v[24:25], v[8:9]
	v_fma_f64 v[16:17], v[14:15], v[24:25], -v[22:23]
	ds_read_b128 v[22:25], v153 offset:5440
	v_fma_f64 v[8:9], v[48:49], v[28:29], v[104:105]
	v_add_f64 v[12:13], v[26:27], v[68:69]
	v_add_f64 v[26:27], v[90:91], v[70:71]
	s_waitcnt vmcnt(7) lgkmcnt(1)
	v_mul_f64 v[90:91], v[20:21], v[34:35]
	v_mul_f64 v[34:35], v[18:19], v[34:35]
	v_fma_f64 v[14:15], v[50:51], v[28:29], -v[30:31]
	s_waitcnt vmcnt(6) lgkmcnt(0)
	v_mul_f64 v[50:51], v[24:25], v[42:43]
	v_mul_f64 v[42:43], v[22:23], v[42:43]
	v_add_f64 v[30:31], v[12:13], v[10:11]
	v_add_f64 v[48:49], v[26:27], v[16:17]
	v_fma_f64 v[12:13], v[18:19], v[32:33], v[90:91]
	v_fma_f64 v[18:19], v[20:21], v[32:33], -v[34:35]
	ds_read_b128 v[26:29], v153 offset:5984
	v_fma_f64 v[122:123], v[22:23], v[40:41], v[50:51]
	ds_read_b128 v[20:23], v153 offset:6528
	v_fma_f64 v[124:125], v[24:25], v[40:41], -v[42:43]
	v_add_f64 v[30:31], v[30:31], v[8:9]
	v_add_f64 v[32:33], v[48:49], v[14:15]
	s_waitcnt vmcnt(5) lgkmcnt(1)
	v_mul_f64 v[24:25], v[28:29], v[58:59]
	v_mul_f64 v[34:35], v[26:27], v[58:59]
	v_add_f64 v[40:41], v[30:31], v[12:13]
	v_add_f64 v[42:43], v[32:33], v[18:19]
	v_fma_f64 v[106:107], v[26:27], v[56:57], v[24:25]
	v_fma_f64 v[90:91], v[28:29], v[56:57], -v[34:35]
	ds_read_b128 v[30:33], v153 offset:7072
	s_waitcnt vmcnt(4) lgkmcnt(1)
	v_mul_f64 v[48:49], v[22:23], v[2:3]
	v_mul_f64 v[2:3], v[20:21], v[2:3]
	v_add_f64 v[24:25], v[40:41], v[122:123]
	v_add_f64 v[26:27], v[42:43], v[124:125]
	v_fma_f64 v[120:121], v[20:21], v[0:1], v[48:49]
	v_fma_f64 v[136:137], v[22:23], v[0:1], -v[2:3]
	ds_read_b128 v[0:3], v153 offset:7616
	s_waitcnt vmcnt(3) lgkmcnt(1)
	v_mul_f64 v[34:35], v[30:31], v[66:67]
	v_add_f64 v[26:27], v[26:27], v[90:91]
	v_mul_f64 v[28:29], v[32:33], v[66:67]
	v_add_f64 v[24:25], v[24:25], v[106:107]
	s_waitcnt vmcnt(2) lgkmcnt(0)
	v_mul_f64 v[40:41], v[2:3], v[94:95]
	v_mul_f64 v[42:43], v[0:1], v[94:95]
	ds_read_b128 v[20:23], v153 offset:8160
	s_waitcnt lgkmcnt(0)
	v_fma_f64 v[56:57], v[32:33], v[64:65], -v[34:35]
	v_add_f64 v[26:27], v[26:27], v[136:137]
	v_fma_f64 v[66:67], v[30:31], v[64:65], v[28:29]
	v_add_f64 v[24:25], v[24:25], v[120:121]
	v_fma_f64 v[58:59], v[0:1], v[92:93], v[40:41]
	v_fma_f64 v[48:49], v[2:3], v[92:93], -v[42:43]
	s_waitcnt vmcnt(0)
	v_mul_f64 v[0:1], v[44:45], v[54:55]
	v_mul_f64 v[2:3], v[22:23], v[38:39]
	;; [unrolled: 1-line block ×3, first 2 shown]
	v_add_f64 v[26:27], v[26:27], v[56:57]
	v_mul_f64 v[30:31], v[46:47], v[54:55]
	v_add_f64 v[24:25], v[24:25], v[66:67]
	s_barrier
	v_fma_f64 v[32:33], v[46:47], v[52:53], -v[0:1]
	v_fma_f64 v[46:47], v[20:21], v[36:37], v[2:3]
	v_fma_f64 v[22:23], v[22:23], v[36:37], -v[28:29]
	v_add_f64 v[2:3], v[26:27], v[48:49]
	v_fma_f64 v[20:21], v[44:45], v[52:53], v[30:31]
	v_add_f64 v[0:1], v[24:25], v[58:59]
	v_add_f64 v[24:25], v[98:99], -v[32:33]
	v_add_f64 v[2:3], v[2:3], v[22:23]
	v_add_f64 v[26:27], v[96:97], v[20:21]
	;; [unrolled: 1-line block ×3, first 2 shown]
	v_mul_f64 v[40:41], v[24:25], s[6:7]
	v_mul_f64 v[42:43], v[24:25], s[14:15]
	;; [unrolled: 1-line block ×3, first 2 shown]
	v_add_f64 v[2:3], v[2:3], v[32:33]
	v_add_f64 v[32:33], v[98:99], v[32:33]
	v_mul_f64 v[30:31], v[24:25], s[26:27]
	v_add_f64 v[0:1], v[0:1], v[20:21]
	v_mul_f64 v[34:35], v[24:25], s[18:19]
	v_add_f64 v[20:21], v[96:97], -v[20:21]
	v_mul_f64 v[50:51], v[24:25], s[24:25]
	v_mul_f64 v[52:53], v[24:25], s[42:43]
	;; [unrolled: 1-line block ×3, first 2 shown]
	v_fma_f64 v[54:55], v[26:27], s[8:9], v[40:41]
	v_fma_f64 v[64:65], v[26:27], s[8:9], -v[40:41]
	v_fma_f64 v[92:93], v[26:27], s[16:17], v[42:43]
	v_fma_f64 v[94:95], v[26:27], s[16:17], -v[42:43]
	v_mul_f64 v[40:41], v[32:33], s[30:31]
	v_mul_f64 v[42:43], v[32:33], s[22:23]
	v_fma_f64 v[36:37], v[26:27], s[30:31], v[28:29]
	v_fma_f64 v[28:29], v[26:27], s[30:31], -v[28:29]
	v_fma_f64 v[38:39], v[26:27], s[22:23], v[30:31]
	v_fma_f64 v[30:31], v[26:27], s[22:23], -v[30:31]
	;; [unrolled: 2-line block ×5, first 2 shown]
	v_fma_f64 v[168:169], v[26:27], s[54:55], v[24:25]
	v_mul_f64 v[50:51], v[32:33], s[20:21]
	v_fma_f64 v[118:119], v[26:27], s[54:55], -v[24:25]
	v_fma_f64 v[24:25], v[20:21], s[48:49], v[40:41]
	v_fma_f64 v[26:27], v[20:21], s[34:35], v[40:41]
	;; [unrolled: 1-line block ×3, first 2 shown]
	v_mul_f64 v[52:53], v[32:33], s[8:9]
	v_fma_f64 v[42:43], v[20:21], s[26:27], v[42:43]
	v_mul_f64 v[98:99], v[32:33], s[16:17]
	v_fma_f64 v[104:105], v[20:21], s[40:41], v[50:51]
	v_fma_f64 v[50:51], v[20:21], s[18:19], v[50:51]
	v_mul_f64 v[116:117], v[32:33], s[28:29]
	v_mul_f64 v[126:127], v[32:33], s[46:47]
	v_add_f64 v[146:147], v[6:7], v[40:41]
	v_fma_f64 v[132:133], v[20:21], s[36:37], v[52:53]
	v_add_f64 v[142:143], v[6:7], v[42:43]
	v_add_f64 v[42:43], v[102:103], -v[22:23]
	v_add_f64 v[40:41], v[102:103], v[22:23]
	v_mul_f64 v[32:33], v[32:33], s[54:55]
	v_fma_f64 v[52:53], v[20:21], s[6:7], v[52:53]
	v_fma_f64 v[170:171], v[20:21], s[44:45], v[98:99]
	v_add_f64 v[184:185], v[4:5], v[36:37]
	v_add_f64 v[186:187], v[6:7], v[24:25]
	;; [unrolled: 1-line block ×6, first 2 shown]
	v_add_f64 v[36:37], v[100:101], -v[46:47]
	v_mul_f64 v[134:135], v[42:43], s[26:27]
	v_mul_f64 v[132:133], v[40:41], s[22:23]
	v_add_f64 v[50:51], v[110:111], -v[48:49]
	v_fma_f64 v[172:173], v[20:21], s[14:15], v[98:99]
	v_fma_f64 v[174:175], v[20:21], s[50:51], v[116:117]
	;; [unrolled: 1-line block ×7, first 2 shown]
	v_add_f64 v[128:129], v[4:5], v[28:29]
	v_add_f64 v[140:141], v[4:5], v[44:45]
	v_add_f64 v[20:21], v[4:5], v[54:55]
	v_add_f64 v[28:29], v[6:7], v[52:53]
	v_add_f64 v[32:33], v[6:7], v[170:171]
	v_add_f64 v[48:49], v[110:111], v[48:49]
	v_fma_f64 v[52:53], v[38:39], s[22:23], v[134:135]
	v_fma_f64 v[54:55], v[36:37], s[38:39], v[132:133]
	v_add_f64 v[46:47], v[108:109], v[58:59]
	v_add_f64 v[44:45], v[108:109], -v[58:59]
	v_mul_f64 v[170:171], v[50:51], s[18:19]
	v_add_f64 v[58:59], v[114:115], -v[56:57]
	v_add_f64 v[126:127], v[6:7], v[26:27]
	v_add_f64 v[26:27], v[4:5], v[34:35]
	;; [unrolled: 1-line block ×5, first 2 shown]
	v_mul_f64 v[172:173], v[48:49], s[20:21]
	v_add_f64 v[94:95], v[4:5], v[162:163]
	v_add_f64 v[56:57], v[114:115], v[56:57]
	;; [unrolled: 1-line block ×4, first 2 shown]
	v_fma_f64 v[108:109], v[46:47], s[20:21], v[170:171]
	v_add_f64 v[54:55], v[112:113], v[66:67]
	v_add_f64 v[52:53], v[112:113], -v[66:67]
	v_mul_f64 v[162:163], v[58:59], s[6:7]
	v_add_f64 v[66:67], v[62:63], -v[136:137]
	v_add_f64 v[144:145], v[4:5], v[30:31]
	v_add_f64 v[138:139], v[6:7], v[104:105]
	;; [unrolled: 1-line block ×4, first 2 shown]
	v_fma_f64 v[110:111], v[44:45], s[40:41], v[172:173]
	v_mul_f64 v[174:175], v[56:57], s[8:9]
	v_add_f64 v[112:113], v[6:7], v[176:177]
	v_add_f64 v[64:65], v[62:63], v[136:137]
	;; [unrolled: 1-line block ×3, first 2 shown]
	v_fma_f64 v[136:137], v[54:55], s[8:9], v[162:163]
	v_add_f64 v[62:63], v[60:61], v[120:121]
	v_mul_f64 v[176:177], v[66:67], s[14:15]
	v_add_f64 v[92:93], v[70:71], -v[90:91]
	v_add_f64 v[102:103], v[4:5], v[96:97]
	v_add_f64 v[96:97], v[4:5], v[164:165]
	;; [unrolled: 1-line block ×3, first 2 shown]
	v_fma_f64 v[164:165], v[52:53], s[36:37], v[174:175]
	v_add_f64 v[60:61], v[60:61], -v[120:121]
	v_mul_f64 v[184:185], v[64:65], s[16:17]
	v_add_f64 v[100:101], v[4:5], v[166:167]
	v_add_f64 v[90:91], v[70:71], v[90:91]
	;; [unrolled: 1-line block ×3, first 2 shown]
	v_fma_f64 v[166:167], v[62:63], s[16:17], v[176:177]
	v_add_f64 v[70:71], v[68:69], v[106:107]
	v_mul_f64 v[186:187], v[92:93], s[24:25]
	v_add_f64 v[114:115], v[6:7], v[178:179]
	v_add_f64 v[164:165], v[164:165], v[110:111]
	v_fma_f64 v[178:179], v[60:61], s[44:45], v[184:185]
	v_add_f64 v[68:69], v[68:69], -v[106:107]
	v_mul_f64 v[188:189], v[90:91], s[28:29]
	v_add_f64 v[110:111], v[4:5], v[168:169]
	v_add_f64 v[166:167], v[166:167], v[136:137]
	v_add_f64 v[106:107], v[16:17], -v[124:125]
	v_fma_f64 v[168:169], v[70:71], s[28:29], v[186:187]
	v_add_f64 v[118:119], v[4:5], v[118:119]
	v_fma_f64 v[4:5], v[38:39], s[22:23], -v[134:135]
	v_add_f64 v[134:135], v[16:17], v[124:125]
	v_add_f64 v[120:121], v[6:7], v[180:181]
	;; [unrolled: 1-line block ×4, first 2 shown]
	v_fma_f64 v[178:179], v[68:69], s[50:51], v[188:189]
	v_add_f64 v[136:137], v[6:7], v[130:131]
	v_add_f64 v[124:125], v[10:11], v[122:123]
	v_mul_f64 v[6:7], v[106:107], s[42:43]
	v_add_f64 v[16:17], v[168:169], v[166:167]
	v_fma_f64 v[166:167], v[36:37], s[26:27], v[132:133]
	v_add_f64 v[4:5], v[4:5], v[128:129]
	v_fma_f64 v[168:169], v[46:47], s[20:21], -v[170:171]
	v_add_f64 v[128:129], v[10:11], -v[122:123]
	v_mul_f64 v[170:171], v[134:135], s[46:47]
	v_add_f64 v[132:133], v[14:15], -v[18:19]
	v_add_f64 v[130:131], v[14:15], v[18:19]
	v_add_f64 v[164:165], v[178:179], v[164:165]
	v_fma_f64 v[10:11], v[124:125], s[46:47], v[6:7]
	v_add_f64 v[14:15], v[166:167], v[126:127]
	v_fma_f64 v[18:19], v[44:45], s[18:19], v[172:173]
	v_add_f64 v[4:5], v[168:169], v[4:5]
	v_fma_f64 v[162:163], v[54:55], s[8:9], -v[162:163]
	v_fma_f64 v[166:167], v[128:129], s[56:57], v[170:171]
	v_add_f64 v[126:127], v[8:9], v[12:13]
	v_add_f64 v[122:123], v[8:9], -v[12:13]
	v_mul_f64 v[12:13], v[132:133], s[52:53]
	v_mul_f64 v[168:169], v[130:131], s[54:55]
	v_add_f64 v[8:9], v[18:19], v[14:15]
	v_fma_f64 v[14:15], v[52:53], s[6:7], v[174:175]
	v_add_f64 v[4:5], v[162:163], v[4:5]
	v_fma_f64 v[18:19], v[62:63], s[16:17], -v[176:177]
	v_add_f64 v[10:11], v[10:11], v[16:17]
	v_add_f64 v[16:17], v[166:167], v[164:165]
	v_fma_f64 v[162:163], v[126:127], s[54:55], v[12:13]
	v_fma_f64 v[164:165], v[122:123], s[58:59], v[168:169]
	v_mul_f64 v[166:167], v[42:43], s[6:7]
	v_add_f64 v[14:15], v[14:15], v[8:9]
	v_fma_f64 v[172:173], v[60:61], s[14:15], v[184:185]
	v_add_f64 v[4:5], v[18:19], v[4:5]
	v_fma_f64 v[18:19], v[70:71], s[28:29], -v[186:187]
	v_mul_f64 v[174:175], v[40:41], s[8:9]
	v_add_f64 v[8:9], v[162:163], v[10:11]
	v_add_f64 v[10:11], v[164:165], v[16:17]
	v_fma_f64 v[16:17], v[38:39], s[8:9], v[166:167]
	v_mul_f64 v[162:163], v[50:51], s[24:25]
	v_add_f64 v[14:15], v[172:173], v[14:15]
	v_fma_f64 v[164:165], v[68:69], s[24:25], v[188:189]
	v_add_f64 v[4:5], v[18:19], v[4:5]
	v_fma_f64 v[18:19], v[36:37], s[36:37], v[174:175]
	v_mul_f64 v[172:173], v[48:49], s[28:29]
	v_fma_f64 v[6:7], v[124:125], s[46:47], -v[6:7]
	v_add_f64 v[16:17], v[16:17], v[148:149]
	v_fma_f64 v[148:149], v[46:47], s[28:29], v[162:163]
	v_mul_f64 v[176:177], v[58:59], s[52:53]
	v_add_f64 v[14:15], v[164:165], v[14:15]
	v_fma_f64 v[164:165], v[128:129], s[42:43], v[170:171]
	v_add_f64 v[18:19], v[18:19], v[146:147]
	v_fma_f64 v[146:147], v[44:45], s[50:51], v[172:173]
	v_mul_f64 v[170:171], v[56:57], s[54:55]
	v_add_f64 v[4:5], v[6:7], v[4:5]
	v_add_f64 v[6:7], v[148:149], v[16:17]
	v_fma_f64 v[16:17], v[54:55], s[54:55], v[176:177]
	v_mul_f64 v[148:149], v[66:67], s[56:57]
	v_fma_f64 v[12:13], v[126:127], s[54:55], -v[12:13]
	v_add_f64 v[14:15], v[164:165], v[14:15]
	v_add_f64 v[18:19], v[146:147], v[18:19]
	v_fma_f64 v[146:147], v[52:53], s[58:59], v[170:171]
	v_mul_f64 v[164:165], v[64:65], s[46:47]
	v_fma_f64 v[168:169], v[122:123], s[52:53], v[168:169]
	v_add_f64 v[16:17], v[16:17], v[6:7]
	v_fma_f64 v[178:179], v[62:63], s[46:47], v[148:149]
	v_mul_f64 v[180:181], v[92:93], s[44:45]
	v_add_f64 v[4:5], v[12:13], v[4:5]
	v_fma_f64 v[12:13], v[38:39], s[8:9], -v[166:167]
	v_add_f64 v[18:19], v[146:147], v[18:19]
	v_fma_f64 v[146:147], v[60:61], s[42:43], v[164:165]
	v_mul_f64 v[166:167], v[90:91], s[16:17]
	v_add_f64 v[6:7], v[168:169], v[14:15]
	v_add_f64 v[14:15], v[178:179], v[16:17]
	v_fma_f64 v[16:17], v[70:71], s[16:17], v[180:181]
	v_fma_f64 v[168:169], v[36:37], s[6:7], v[174:175]
	v_add_f64 v[12:13], v[12:13], v[144:145]
	v_fma_f64 v[144:145], v[46:47], s[28:29], -v[162:163]
	v_add_f64 v[18:19], v[146:147], v[18:19]
	v_fma_f64 v[146:147], v[68:69], s[14:15], v[166:167]
	v_mul_f64 v[162:163], v[106:107], s[40:41]
	v_mul_f64 v[174:175], v[134:135], s[20:21]
	v_add_f64 v[14:15], v[16:17], v[14:15]
	v_add_f64 v[16:17], v[168:169], v[142:143]
	v_fma_f64 v[142:143], v[44:45], s[24:25], v[172:173]
	v_add_f64 v[12:13], v[144:145], v[12:13]
	v_fma_f64 v[144:145], v[54:55], s[54:55], -v[176:177]
	v_add_f64 v[18:19], v[146:147], v[18:19]
	v_fma_f64 v[146:147], v[124:125], s[20:21], v[162:163]
	v_fma_f64 v[168:169], v[128:129], s[18:19], v[174:175]
	v_mul_f64 v[172:173], v[132:133], s[48:49]
	v_mul_f64 v[176:177], v[130:131], s[30:31]
	v_add_f64 v[16:17], v[142:143], v[16:17]
	v_fma_f64 v[142:143], v[52:53], s[52:53], v[170:171]
	v_add_f64 v[12:13], v[144:145], v[12:13]
	v_fma_f64 v[144:145], v[62:63], s[46:47], -v[148:149]
	v_add_f64 v[14:15], v[146:147], v[14:15]
	v_add_f64 v[18:19], v[168:169], v[18:19]
	v_fma_f64 v[146:147], v[126:127], s[30:31], v[172:173]
	v_fma_f64 v[148:149], v[122:123], s[34:35], v[176:177]
	v_mul_f64 v[168:169], v[42:43], s[24:25]
	v_add_f64 v[142:143], v[142:143], v[16:17]
	v_fma_f64 v[164:165], v[60:61], s[56:57], v[164:165]
	v_add_f64 v[12:13], v[144:145], v[12:13]
	v_fma_f64 v[144:145], v[70:71], s[16:17], -v[180:181]
	v_mul_f64 v[170:171], v[40:41], s[28:29]
	v_add_f64 v[16:17], v[146:147], v[14:15]
	v_add_f64 v[18:19], v[148:149], v[18:19]
	v_fma_f64 v[14:15], v[38:39], s[28:29], v[168:169]
	v_mul_f64 v[146:147], v[50:51], s[58:59]
	v_add_f64 v[142:143], v[164:165], v[142:143]
	v_fma_f64 v[148:149], v[68:69], s[44:45], v[166:167]
	v_add_f64 v[12:13], v[144:145], v[12:13]
	v_fma_f64 v[144:145], v[36:37], s[50:51], v[170:171]
	v_mul_f64 v[164:165], v[48:49], s[54:55]
	v_fma_f64 v[162:163], v[124:125], s[20:21], -v[162:163]
	v_add_f64 v[14:15], v[14:15], v[140:141]
	v_fma_f64 v[140:141], v[46:47], s[54:55], v[146:147]
	v_mul_f64 v[166:167], v[58:59], s[44:45]
	v_add_f64 v[142:143], v[148:149], v[142:143]
	v_fma_f64 v[148:149], v[128:129], s[40:41], v[174:175]
	v_add_f64 v[138:139], v[144:145], v[138:139]
	v_fma_f64 v[144:145], v[44:45], s[52:53], v[164:165]
	v_mul_f64 v[174:175], v[56:57], s[16:17]
	v_add_f64 v[12:13], v[162:163], v[12:13]
	v_add_f64 v[14:15], v[140:141], v[14:15]
	v_fma_f64 v[140:141], v[54:55], s[16:17], v[166:167]
	v_mul_f64 v[162:163], v[66:67], s[38:39]
	v_fma_f64 v[172:173], v[126:127], s[30:31], -v[172:173]
	v_add_f64 v[142:143], v[148:149], v[142:143]
	v_add_f64 v[138:139], v[144:145], v[138:139]
	v_fma_f64 v[144:145], v[52:53], s[14:15], v[174:175]
	v_mul_f64 v[148:149], v[64:65], s[22:23]
	v_fma_f64 v[176:177], v[122:123], s[48:49], v[176:177]
	v_fma_f64 v[168:169], v[38:39], s[28:29], -v[168:169]
	v_add_f64 v[140:141], v[140:141], v[14:15]
	v_fma_f64 v[178:179], v[62:63], s[22:23], v[162:163]
	v_add_f64 v[12:13], v[172:173], v[12:13]
	v_mul_f64 v[172:173], v[92:93], s[34:35]
	v_add_f64 v[138:139], v[144:145], v[138:139]
	v_fma_f64 v[144:145], v[60:61], s[26:27], v[148:149]
	v_mul_f64 v[180:181], v[90:91], s[30:31]
	v_add_f64 v[14:15], v[176:177], v[142:143]
	v_fma_f64 v[142:143], v[36:37], s[24:25], v[170:171]
	v_add_f64 v[26:27], v[168:169], v[26:27]
	v_fma_f64 v[146:147], v[46:47], s[54:55], -v[146:147]
	v_add_f64 v[140:141], v[178:179], v[140:141]
	v_fma_f64 v[170:171], v[70:71], s[30:31], v[172:173]
	v_add_f64 v[138:139], v[144:145], v[138:139]
	v_fma_f64 v[144:145], v[68:69], s[48:49], v[180:181]
	v_mul_f64 v[168:169], v[106:107], s[6:7]
	v_mul_f64 v[176:177], v[134:135], s[8:9]
	v_add_f64 v[24:25], v[142:143], v[24:25]
	v_fma_f64 v[142:143], v[44:45], s[58:59], v[164:165]
	v_add_f64 v[26:27], v[146:147], v[26:27]
	v_fma_f64 v[146:147], v[54:55], s[16:17], -v[166:167]
	v_add_f64 v[140:141], v[170:171], v[140:141]
	v_add_f64 v[138:139], v[144:145], v[138:139]
	v_fma_f64 v[144:145], v[124:125], s[8:9], v[168:169]
	v_fma_f64 v[164:165], v[128:129], s[36:37], v[176:177]
	v_mul_f64 v[166:167], v[132:133], s[42:43]
	v_add_f64 v[24:25], v[142:143], v[24:25]
	v_fma_f64 v[142:143], v[52:53], s[44:45], v[174:175]
	v_mul_f64 v[170:171], v[130:131], s[46:47]
	v_add_f64 v[26:27], v[146:147], v[26:27]
	v_fma_f64 v[146:147], v[62:63], s[22:23], -v[162:163]
	v_add_f64 v[140:141], v[144:145], v[140:141]
	v_add_f64 v[138:139], v[164:165], v[138:139]
	v_fma_f64 v[144:145], v[126:127], s[46:47], v[166:167]
	v_mul_f64 v[162:163], v[42:43], s[52:53]
	v_add_f64 v[142:143], v[142:143], v[24:25]
	v_fma_f64 v[148:149], v[60:61], s[38:39], v[148:149]
	v_fma_f64 v[164:165], v[122:123], s[56:57], v[170:171]
	v_add_f64 v[146:147], v[146:147], v[26:27]
	v_fma_f64 v[172:173], v[70:71], s[30:31], -v[172:173]
	v_mul_f64 v[174:175], v[40:41], s[54:55]
	v_add_f64 v[24:25], v[144:145], v[140:141]
	v_fma_f64 v[140:141], v[38:39], s[54:55], v[162:163]
	v_mul_f64 v[144:145], v[50:51], s[44:45]
	v_add_f64 v[142:143], v[148:149], v[142:143]
	v_fma_f64 v[148:149], v[68:69], s[34:35], v[180:181]
	v_add_f64 v[26:27], v[164:165], v[138:139]
	v_add_f64 v[138:139], v[172:173], v[146:147]
	v_fma_f64 v[146:147], v[36:37], s[58:59], v[174:175]
	v_mul_f64 v[164:165], v[48:49], s[16:17]
	v_add_f64 v[20:21], v[140:141], v[20:21]
	v_fma_f64 v[140:141], v[46:47], s[16:17], v[144:145]
	v_mul_f64 v[172:173], v[58:59], s[48:49]
	v_add_f64 v[142:143], v[148:149], v[142:143]
	v_fma_f64 v[148:149], v[124:125], s[8:9], -v[168:169]
	v_fma_f64 v[168:169], v[128:129], s[6:7], v[176:177]
	v_add_f64 v[22:23], v[146:147], v[22:23]
	v_fma_f64 v[146:147], v[44:45], s[14:15], v[164:165]
	v_mul_f64 v[176:177], v[56:57], s[30:31]
	v_add_f64 v[20:21], v[140:141], v[20:21]
	v_fma_f64 v[140:141], v[54:55], s[30:31], v[172:173]
	v_mul_f64 v[178:179], v[66:67], s[18:19]
	v_add_f64 v[138:139], v[148:149], v[138:139]
	v_fma_f64 v[148:149], v[126:127], s[46:47], -v[166:167]
	v_mul_f64 v[166:167], v[64:65], s[20:21]
	v_add_f64 v[22:23], v[146:147], v[22:23]
	v_fma_f64 v[146:147], v[52:53], s[34:35], v[176:177]
	v_add_f64 v[142:143], v[168:169], v[142:143]
	v_add_f64 v[140:141], v[140:141], v[20:21]
	v_fma_f64 v[168:169], v[62:63], s[20:21], v[178:179]
	v_mul_f64 v[180:181], v[92:93], s[42:43]
	v_fma_f64 v[170:171], v[122:123], s[42:43], v[170:171]
	v_add_f64 v[20:21], v[148:149], v[138:139]
	v_fma_f64 v[138:139], v[38:39], s[54:55], -v[162:163]
	v_add_f64 v[146:147], v[146:147], v[22:23]
	v_fma_f64 v[148:149], v[60:61], s[40:41], v[166:167]
	v_mul_f64 v[162:163], v[90:91], s[46:47]
	v_add_f64 v[140:141], v[168:169], v[140:141]
	v_fma_f64 v[168:169], v[70:71], s[46:47], v[180:181]
	v_add_f64 v[22:23], v[170:171], v[142:143]
	v_fma_f64 v[142:143], v[36:37], s[52:53], v[174:175]
	v_add_f64 v[30:31], v[138:139], v[30:31]
	v_fma_f64 v[138:139], v[46:47], s[16:17], -v[144:145]
	v_add_f64 v[144:145], v[148:149], v[146:147]
	v_fma_f64 v[146:147], v[68:69], s[56:57], v[162:163]
	v_mul_f64 v[148:149], v[106:107], s[50:51]
	v_add_f64 v[140:141], v[168:169], v[140:141]
	v_mul_f64 v[168:169], v[134:135], s[28:29]
	v_add_f64 v[28:29], v[142:143], v[28:29]
	v_fma_f64 v[142:143], v[44:45], s[44:45], v[164:165]
	v_add_f64 v[30:31], v[138:139], v[30:31]
	v_fma_f64 v[138:139], v[54:55], s[30:31], -v[172:173]
	v_add_f64 v[144:145], v[146:147], v[144:145]
	v_fma_f64 v[146:147], v[124:125], s[28:29], v[148:149]
	v_mul_f64 v[164:165], v[132:133], s[38:39]
	v_fma_f64 v[170:171], v[128:129], s[24:25], v[168:169]
	v_mul_f64 v[172:173], v[130:131], s[22:23]
	v_add_f64 v[28:29], v[142:143], v[28:29]
	v_fma_f64 v[142:143], v[52:53], s[48:49], v[176:177]
	v_add_f64 v[30:31], v[138:139], v[30:31]
	v_fma_f64 v[138:139], v[62:63], s[20:21], -v[178:179]
	v_add_f64 v[140:141], v[146:147], v[140:141]
	v_fma_f64 v[146:147], v[126:127], s[22:23], v[164:165]
	v_add_f64 v[144:145], v[170:171], v[144:145]
	v_fma_f64 v[170:171], v[122:123], s[26:27], v[172:173]
	v_mul_f64 v[174:175], v[42:43], s[56:57]
	v_add_f64 v[142:143], v[142:143], v[28:29]
	v_fma_f64 v[166:167], v[60:61], s[18:19], v[166:167]
	v_add_f64 v[138:139], v[138:139], v[30:31]
	v_fma_f64 v[176:177], v[70:71], s[46:47], -v[180:181]
	v_add_f64 v[28:29], v[146:147], v[140:141]
	v_mul_f64 v[140:141], v[40:41], s[46:47]
	v_add_f64 v[30:31], v[170:171], v[144:145]
	v_fma_f64 v[144:145], v[38:39], s[46:47], v[174:175]
	v_mul_f64 v[146:147], v[50:51], s[38:39]
	v_add_f64 v[142:143], v[166:167], v[142:143]
	v_fma_f64 v[162:163], v[68:69], s[42:43], v[162:163]
	v_add_f64 v[138:139], v[176:177], v[138:139]
	v_fma_f64 v[148:149], v[124:125], s[28:29], -v[148:149]
	v_fma_f64 v[166:167], v[36:37], s[42:43], v[140:141]
	v_mul_f64 v[170:171], v[48:49], s[22:23]
	v_add_f64 v[34:35], v[144:145], v[34:35]
	v_fma_f64 v[144:145], v[46:47], s[22:23], v[146:147]
	v_mul_f64 v[176:177], v[58:59], s[18:19]
	v_add_f64 v[142:143], v[162:163], v[142:143]
	v_fma_f64 v[162:163], v[128:129], s[50:51], v[168:169]
	v_add_f64 v[138:139], v[148:149], v[138:139]
	v_add_f64 v[32:33], v[166:167], v[32:33]
	v_fma_f64 v[148:149], v[44:45], s[26:27], v[170:171]
	v_mul_f64 v[166:167], v[56:57], s[20:21]
	v_add_f64 v[34:35], v[144:145], v[34:35]
	v_fma_f64 v[144:145], v[54:55], s[20:21], v[176:177]
	v_mul_f64 v[168:169], v[66:67], s[52:53]
	v_add_f64 v[142:143], v[162:163], v[142:143]
	v_fma_f64 v[162:163], v[126:127], s[22:23], -v[164:165]
	v_fma_f64 v[164:165], v[122:123], s[38:39], v[172:173]
	v_add_f64 v[148:149], v[148:149], v[32:33]
	v_fma_f64 v[172:173], v[52:53], s[40:41], v[166:167]
	v_mul_f64 v[178:179], v[64:65], s[54:55]
	v_add_f64 v[144:145], v[144:145], v[34:35]
	v_fma_f64 v[180:181], v[62:63], s[54:55], v[168:169]
	v_mul_f64 v[182:183], v[92:93], s[36:37]
	v_add_f64 v[32:33], v[162:163], v[138:139]
	v_add_f64 v[34:35], v[164:165], v[142:143]
	v_fma_f64 v[138:139], v[38:39], s[46:47], -v[174:175]
	v_add_f64 v[142:143], v[172:173], v[148:149]
	v_fma_f64 v[148:149], v[60:61], s[58:59], v[178:179]
	v_mul_f64 v[162:163], v[90:91], s[8:9]
	v_fma_f64 v[140:141], v[36:37], s[56:57], v[140:141]
	v_add_f64 v[144:145], v[180:181], v[144:145]
	v_fma_f64 v[164:165], v[70:71], s[8:9], v[182:183]
	v_mul_f64 v[172:173], v[106:107], s[34:35]
	v_add_f64 v[98:99], v[138:139], v[98:99]
	v_fma_f64 v[138:139], v[46:47], s[22:23], -v[146:147]
	v_add_f64 v[142:143], v[148:149], v[142:143]
	v_fma_f64 v[146:147], v[68:69], s[6:7], v[162:163]
	v_mul_f64 v[148:149], v[134:135], s[30:31]
	v_add_f64 v[116:117], v[140:141], v[116:117]
	v_fma_f64 v[140:141], v[44:45], s[38:39], v[170:171]
	v_add_f64 v[144:145], v[164:165], v[144:145]
	v_fma_f64 v[164:165], v[124:125], s[30:31], v[172:173]
	v_add_f64 v[98:99], v[138:139], v[98:99]
	v_fma_f64 v[138:139], v[54:55], s[20:21], -v[176:177]
	v_add_f64 v[142:143], v[146:147], v[142:143]
	v_fma_f64 v[146:147], v[128:129], s[48:49], v[148:149]
	v_mul_f64 v[170:171], v[132:133], s[24:25]
	v_mul_f64 v[174:175], v[130:131], s[28:29]
	v_add_f64 v[116:117], v[140:141], v[116:117]
	v_fma_f64 v[140:141], v[52:53], s[18:19], v[166:167]
	v_add_f64 v[144:145], v[164:165], v[144:145]
	v_add_f64 v[98:99], v[138:139], v[98:99]
	v_fma_f64 v[138:139], v[62:63], s[54:55], -v[168:169]
	v_add_f64 v[142:143], v[146:147], v[142:143]
	v_fma_f64 v[146:147], v[126:127], s[28:29], v[170:171]
	v_fma_f64 v[164:165], v[122:123], s[50:51], v[174:175]
	v_mul_f64 v[166:167], v[42:43], s[44:45]
	v_add_f64 v[116:117], v[140:141], v[116:117]
	v_fma_f64 v[168:169], v[60:61], s[52:53], v[178:179]
	v_mul_f64 v[176:177], v[40:41], s[16:17]
	v_add_f64 v[98:99], v[138:139], v[98:99]
	v_fma_f64 v[178:179], v[70:71], s[8:9], -v[182:183]
	v_add_f64 v[138:139], v[146:147], v[144:145]
	v_add_f64 v[140:141], v[164:165], v[142:143]
	v_fma_f64 v[142:143], v[38:39], s[16:17], v[166:167]
	v_mul_f64 v[144:145], v[50:51], s[34:35]
	v_add_f64 v[116:117], v[168:169], v[116:117]
	v_fma_f64 v[162:163], v[68:69], s[36:37], v[162:163]
	v_fma_f64 v[146:147], v[36:37], s[14:15], v[176:177]
	v_mul_f64 v[164:165], v[48:49], s[30:31]
	v_add_f64 v[98:99], v[178:179], v[98:99]
	v_fma_f64 v[168:169], v[124:125], s[30:31], -v[172:173]
	v_add_f64 v[102:103], v[142:143], v[102:103]
	v_fma_f64 v[142:143], v[46:47], s[30:31], v[144:145]
	v_mul_f64 v[172:173], v[58:59], s[42:43]
	v_add_f64 v[116:117], v[162:163], v[116:117]
	v_fma_f64 v[148:149], v[128:129], s[34:35], v[148:149]
	v_add_f64 v[104:105], v[146:147], v[104:105]
	v_fma_f64 v[146:147], v[44:45], s[48:49], v[164:165]
	v_mul_f64 v[178:179], v[56:57], s[46:47]
	v_add_f64 v[98:99], v[168:169], v[98:99]
	v_add_f64 v[102:103], v[142:143], v[102:103]
	v_fma_f64 v[142:143], v[54:55], s[46:47], v[172:173]
	v_mul_f64 v[162:163], v[66:67], s[36:37]
	v_add_f64 v[116:117], v[148:149], v[116:117]
	v_fma_f64 v[148:149], v[126:127], s[28:29], -v[170:171]
	v_add_f64 v[104:105], v[146:147], v[104:105]
	v_fma_f64 v[146:147], v[52:53], s[56:57], v[178:179]
	v_fma_f64 v[170:171], v[122:123], s[24:25], v[174:175]
	v_mul_f64 v[180:181], v[92:93], s[26:27]
	v_add_f64 v[142:143], v[142:143], v[102:103]
	v_fma_f64 v[174:175], v[62:63], s[8:9], v[162:163]
	v_mul_f64 v[168:169], v[64:65], s[8:9]
	v_add_f64 v[102:103], v[148:149], v[98:99]
	v_fma_f64 v[98:99], v[38:39], s[16:17], -v[166:167]
	v_add_f64 v[146:147], v[146:147], v[104:105]
	v_add_f64 v[104:105], v[170:171], v[116:117]
	v_fma_f64 v[148:149], v[36:37], s[44:45], v[176:177]
	v_mul_f64 v[184:185], v[90:91], s[22:23]
	v_add_f64 v[116:117], v[174:175], v[142:143]
	v_fma_f64 v[142:143], v[70:71], s[22:23], v[180:181]
	v_fma_f64 v[182:183], v[60:61], s[6:7], v[168:169]
	v_add_f64 v[94:95], v[98:99], v[94:95]
	v_fma_f64 v[98:99], v[46:47], s[30:31], -v[144:145]
	v_fma_f64 v[168:169], v[60:61], s[36:37], v[168:169]
	v_add_f64 v[112:113], v[148:149], v[112:113]
	v_fma_f64 v[166:167], v[68:69], s[38:39], v[184:185]
	v_mul_f64 v[170:171], v[106:107], s[52:53]
	v_add_f64 v[116:117], v[142:143], v[116:117]
	v_fma_f64 v[142:143], v[44:45], s[34:35], v[164:165]
	v_add_f64 v[146:147], v[182:183], v[146:147]
	v_add_f64 v[94:95], v[98:99], v[94:95]
	v_fma_f64 v[98:99], v[54:55], s[46:47], -v[172:173]
	v_mul_f64 v[174:175], v[134:135], s[54:55]
	v_mul_f64 v[164:165], v[132:133], s[40:41]
	;; [unrolled: 1-line block ×4, first 2 shown]
	v_add_f64 v[112:113], v[142:143], v[112:113]
	v_fma_f64 v[142:143], v[52:53], s[42:43], v[178:179]
	v_add_f64 v[144:145], v[166:167], v[146:147]
	v_add_f64 v[94:95], v[98:99], v[94:95]
	v_fma_f64 v[98:99], v[62:63], s[8:9], -v[162:163]
	v_fma_f64 v[146:147], v[124:125], s[54:55], v[170:171]
	v_fma_f64 v[148:149], v[128:129], s[58:59], v[174:175]
	v_mul_f64 v[166:167], v[130:131], s[20:21]
	v_fma_f64 v[170:171], v[124:125], s[54:55], -v[170:171]
	v_add_f64 v[112:113], v[142:143], v[112:113]
	v_mul_f64 v[178:179], v[56:57], s[28:29]
	v_mul_f64 v[40:41], v[40:41], s[30:31]
	v_add_f64 v[94:95], v[98:99], v[94:95]
	v_fma_f64 v[98:99], v[70:71], s[22:23], -v[180:181]
	v_add_f64 v[144:145], v[148:149], v[144:145]
	v_fma_f64 v[162:163], v[122:123], s[18:19], v[166:167]
	v_add_f64 v[116:117], v[146:147], v[116:117]
	v_add_f64 v[112:113], v[168:169], v[112:113]
	v_fma_f64 v[146:147], v[126:127], s[20:21], v[164:165]
	v_mul_f64 v[148:149], v[42:43], s[40:41]
	v_mul_f64 v[168:169], v[48:49], s[8:9]
	v_add_f64 v[94:95], v[98:99], v[94:95]
	v_fma_f64 v[98:99], v[68:69], s[26:27], v[184:185]
	v_add_f64 v[144:145], v[162:163], v[144:145]
	v_fma_f64 v[162:163], v[36:37], s[18:19], v[172:173]
	v_mul_f64 v[42:43], v[42:43], s[48:49]
	v_add_f64 v[142:143], v[146:147], v[116:117]
	v_fma_f64 v[116:117], v[38:39], s[20:21], v[148:149]
	v_mul_f64 v[146:147], v[50:51], s[6:7]
	v_add_f64 v[94:95], v[170:171], v[94:95]
	v_add_f64 v[98:99], v[98:99], v[112:113]
	v_fma_f64 v[112:113], v[128:129], s[52:53], v[174:175]
	v_add_f64 v[114:115], v[162:163], v[114:115]
	v_fma_f64 v[162:163], v[44:45], s[36:37], v[168:169]
	v_fma_f64 v[148:149], v[38:39], s[20:21], -v[148:149]
	v_add_f64 v[96:97], v[116:117], v[96:97]
	v_fma_f64 v[116:117], v[46:47], s[8:9], v[146:147]
	v_mul_f64 v[170:171], v[64:65], s[30:31]
	v_fma_f64 v[146:147], v[46:47], s[8:9], -v[146:147]
	v_add_f64 v[98:99], v[112:113], v[98:99]
	v_fma_f64 v[112:113], v[126:127], s[20:21], -v[164:165]
	v_add_f64 v[114:115], v[162:163], v[114:115]
	v_fma_f64 v[162:163], v[52:53], s[24:25], v[178:179]
	v_add_f64 v[100:101], v[148:149], v[100:101]
	v_mul_f64 v[180:181], v[66:67], s[34:35]
	v_fma_f64 v[164:165], v[122:123], s[40:41], v[166:167]
	v_mul_f64 v[166:167], v[90:91], s[54:55]
	v_mul_f64 v[50:51], v[50:51], s[42:43]
	v_add_f64 v[94:95], v[112:113], v[94:95]
	v_fma_f64 v[112:113], v[36:37], s[40:41], v[172:173]
	v_add_f64 v[114:115], v[162:163], v[114:115]
	v_fma_f64 v[162:163], v[60:61], s[48:49], v[170:171]
	v_add_f64 v[100:101], v[146:147], v[100:101]
	v_fma_f64 v[146:147], v[54:55], s[28:29], -v[176:177]
	v_mul_f64 v[48:49], v[48:49], s[46:47]
	v_add_f64 v[96:97], v[116:117], v[96:97]
	v_fma_f64 v[116:117], v[54:55], s[28:29], v[176:177]
	v_add_f64 v[112:113], v[112:113], v[120:121]
	v_fma_f64 v[120:121], v[44:45], s[6:7], v[168:169]
	v_fma_f64 v[168:169], v[38:39], s[30:31], v[42:43]
	v_fma_f64 v[38:39], v[38:39], s[30:31], -v[42:43]
	v_mul_f64 v[174:175], v[92:93], s[52:53]
	v_add_f64 v[114:115], v[162:163], v[114:115]
	v_fma_f64 v[162:163], v[68:69], s[58:59], v[166:167]
	v_add_f64 v[100:101], v[146:147], v[100:101]
	v_fma_f64 v[146:147], v[62:63], s[30:31], -v[180:181]
	v_add_f64 v[112:113], v[120:121], v[112:113]
	v_fma_f64 v[120:121], v[52:53], s[50:51], v[178:179]
	v_add_f64 v[110:111], v[168:169], v[110:111]
	v_fma_f64 v[168:169], v[44:45], s[56:57], v[48:49]
	v_mul_f64 v[58:59], v[58:59], s[38:39]
	v_mul_f64 v[56:57], v[56:57], s[22:23]
	v_add_f64 v[38:39], v[38:39], v[118:119]
	v_fma_f64 v[44:45], v[44:45], s[42:43], v[48:49]
	v_add_f64 v[96:97], v[116:117], v[96:97]
	v_add_f64 v[112:113], v[120:121], v[112:113]
	v_fma_f64 v[120:121], v[60:61], s[34:35], v[170:171]
	v_fma_f64 v[170:171], v[36:37], s[34:35], v[40:41]
	;; [unrolled: 1-line block ×4, first 2 shown]
	v_mul_f64 v[182:183], v[106:107], s[38:39]
	v_add_f64 v[100:101], v[146:147], v[100:101]
	v_fma_f64 v[146:147], v[70:71], s[54:55], -v[174:175]
	v_mul_f64 v[66:67], v[66:67], s[24:25]
	v_add_f64 v[112:113], v[120:121], v[112:113]
	v_fma_f64 v[120:121], v[68:69], s[52:53], v[166:167]
	v_fma_f64 v[166:167], v[46:47], s[46:47], v[50:51]
	v_add_f64 v[108:109], v[170:171], v[108:109]
	v_fma_f64 v[46:47], v[46:47], s[46:47], -v[50:51]
	v_add_f64 v[36:37], v[36:37], v[136:137]
	v_fma_f64 v[50:51], v[54:55], s[22:23], v[58:59]
	v_mul_f64 v[64:65], v[64:65], s[28:29]
	v_add_f64 v[96:97], v[116:117], v[96:97]
	v_fma_f64 v[116:117], v[70:71], s[54:55], v[174:175]
	v_add_f64 v[110:111], v[166:167], v[110:111]
	v_add_f64 v[40:41], v[168:169], v[108:109]
	v_fma_f64 v[108:109], v[52:53], s[26:27], v[56:57]
	v_add_f64 v[38:39], v[46:47], v[38:39]
	v_fma_f64 v[46:47], v[54:55], s[22:23], -v[58:59]
	v_add_f64 v[36:37], v[44:45], v[36:37]
	v_fma_f64 v[44:45], v[52:53], s[38:39], v[56:57]
	v_mul_f64 v[172:173], v[134:135], s[22:23]
	v_add_f64 v[42:43], v[146:147], v[100:101]
	v_fma_f64 v[48:49], v[124:125], s[22:23], -v[182:183]
	v_add_f64 v[50:51], v[50:51], v[110:111]
	v_add_f64 v[40:41], v[108:109], v[40:41]
	v_fma_f64 v[54:55], v[62:63], s[28:29], v[66:67]
	v_fma_f64 v[58:59], v[60:61], s[50:51], v[64:65]
	v_mul_f64 v[52:53], v[92:93], s[40:41]
	v_add_f64 v[38:39], v[46:47], v[38:39]
	v_mul_f64 v[46:47], v[90:91], s[20:21]
	v_fma_f64 v[56:57], v[62:63], s[28:29], -v[66:67]
	v_add_f64 v[36:37], v[44:45], v[36:37]
	v_fma_f64 v[44:45], v[60:61], s[24:25], v[64:65]
	v_add_f64 v[116:117], v[116:117], v[96:97]
	v_fma_f64 v[184:185], v[124:125], s[22:23], v[182:183]
	;; [unrolled: 2-line block ×3, first 2 shown]
	v_add_f64 v[42:43], v[48:49], v[42:43]
	v_add_f64 v[48:49], v[54:55], v[50:51]
	;; [unrolled: 1-line block ×3, first 2 shown]
	v_fma_f64 v[50:51], v[70:71], s[20:21], v[52:53]
	v_fma_f64 v[54:55], v[68:69], s[18:19], v[46:47]
	v_add_f64 v[38:39], v[56:57], v[38:39]
	v_mul_f64 v[56:57], v[106:107], s[14:15]
	v_fma_f64 v[52:53], v[70:71], s[20:21], -v[52:53]
	v_mul_f64 v[58:59], v[134:135], s[16:17]
	v_add_f64 v[36:37], v[44:45], v[36:37]
	v_fma_f64 v[44:45], v[68:69], s[40:41], v[46:47]
	v_add_f64 v[96:97], v[164:165], v[98:99]
	v_add_f64 v[98:99], v[184:185], v[116:117]
	v_mul_f64 v[116:117], v[132:133], s[14:15]
	v_add_f64 v[114:115], v[148:149], v[114:115]
	v_mul_f64 v[148:149], v[130:131], s[16:17]
	v_add_f64 v[100:101], v[120:121], v[112:113]
	v_fma_f64 v[60:61], v[128:129], s[38:39], v[172:173]
	v_add_f64 v[46:47], v[50:51], v[48:49]
	v_add_f64 v[40:41], v[54:55], v[40:41]
	v_fma_f64 v[48:49], v[124:125], s[16:17], v[56:57]
	v_add_f64 v[38:39], v[52:53], v[38:39]
	v_fma_f64 v[50:51], v[128:129], s[44:45], v[58:59]
	v_fma_f64 v[52:53], v[124:125], s[16:17], -v[56:57]
	v_add_f64 v[36:37], v[44:45], v[36:37]
	v_fma_f64 v[44:45], v[128:129], s[14:15], v[58:59]
	v_mul_f64 v[56:57], v[132:133], s[36:37]
	v_mul_f64 v[58:59], v[130:131], s[8:9]
	v_add_f64 v[54:55], v[60:61], v[100:101]
	v_add_f64 v[46:47], v[48:49], v[46:47]
	;; [unrolled: 1-line block ×4, first 2 shown]
	v_fma_f64 v[40:41], v[126:127], s[16:17], -v[116:117]
	v_fma_f64 v[52:53], v[122:123], s[14:15], v[148:149]
	v_fma_f64 v[162:163], v[126:127], s[16:17], v[116:117]
	;; [unrolled: 1-line block ×3, first 2 shown]
	v_add_f64 v[60:61], v[44:45], v[36:37]
	v_fma_f64 v[44:45], v[126:127], s[8:9], v[56:57]
	v_fma_f64 v[62:63], v[122:123], s[6:7], v[58:59]
	v_fma_f64 v[56:57], v[126:127], s[8:9], -v[56:57]
	v_fma_f64 v[58:59], v[122:123], s[36:37], v[58:59]
	v_add_f64 v[40:41], v[40:41], v[42:43]
	v_add_f64 v[42:43], v[52:53], v[54:55]
	v_mov_b32_e32 v52, 0x1210
	v_cndmask_b32_e32 v52, 0, v52, vcc
	v_add_u32_e32 v52, 0, v52
	v_add_f64 v[36:37], v[162:163], v[98:99]
	v_add_f64 v[38:39], v[164:165], v[114:115]
	;; [unrolled: 1-line block ×6, first 2 shown]
	v_add3_u32 v52, v52, v88, v75
	ds_write_b128 v52, v[0:3]
	ds_write_b128 v52, v[8:11] offset:272
	ds_write_b128 v52, v[16:19] offset:544
	;; [unrolled: 1-line block ×16, first 2 shown]
	s_waitcnt lgkmcnt(0)
	s_barrier
	ds_read_b128 v[28:31], v151
	ds_read_b128 v[56:59], v153 offset:4624
	ds_read_b128 v[60:63], v153 offset:5168
	;; [unrolled: 1-line block ×3, first 2 shown]
	ds_read_b128 v[32:35], v158
	ds_read_b128 v[24:27], v161
	ds_read_b128 v[68:71], v153 offset:6256
	ds_read_b128 v[40:43], v153 offset:6800
	ds_read_b128 v[16:19], v159
	ds_read_b128 v[12:15], v157
	ds_read_b128 v[44:47], v153 offset:7344
	ds_read_b128 v[48:51], v153 offset:7888
	ds_read_b128 v[20:23], v156
	ds_read_b128 v[8:11], v155
	;; [unrolled: 1-line block ×3, first 2 shown]
	ds_read_b128 v[52:55], v153 offset:8432
                                        ; implicit-def: $vgpr2_vgpr3
	s_and_saveexec_b64 s[6:7], s[2:3]
	s_cbranch_execz .LBB0_14
; %bb.13:
	ds_read_b128 v[4:7], v154
	ds_read_b128 v[0:3], v153 offset:8976
	v_mov_b32_e32 v87, v78
.LBB0_14:
	s_or_b64 exec, exec, s[6:7]
	v_mov_b32_e32 v75, v89
	v_lshlrev_b64 v[96:97], 4, v[74:75]
	v_mov_b32_e32 v75, s13
	v_add_co_u32_e32 v86, vcc, s12, v96
	v_addc_co_u32_e32 v88, vcc, v75, v97, vcc
	s_movk_i32 s6, 0x1000
	v_add_co_u32_e32 v90, vcc, s6, v86
	v_mov_b32_e32 v86, v89
	v_lshlrev_b64 v[94:95], 4, v[85:86]
	v_addc_co_u32_e32 v91, vcc, 0, v88, vcc
	v_add_co_u32_e32 v85, vcc, s12, v94
	v_addc_co_u32_e32 v86, vcc, v75, v95, vcc
	v_add_co_u32_e32 v85, vcc, s6, v85
	v_addc_co_u32_e32 v86, vcc, 0, v86, vcc
	global_load_dwordx4 v[98:101], v[90:91], off offset:256
	global_load_dwordx4 v[102:105], v[85:86], off offset:256
	v_mov_b32_e32 v85, v89
	v_lshlrev_b64 v[92:93], 4, v[84:85]
	v_add_co_u32_e32 v84, vcc, s12, v92
	v_addc_co_u32_e32 v86, vcc, v75, v93, vcc
	v_add_co_u32_e32 v85, vcc, s6, v84
	v_mov_b32_e32 v84, v89
	v_lshlrev_b64 v[90:91], 4, v[83:84]
	v_addc_co_u32_e32 v86, vcc, 0, v86, vcc
	v_add_co_u32_e32 v83, vcc, s12, v90
	v_addc_co_u32_e32 v84, vcc, v75, v91, vcc
	v_add_co_u32_e32 v83, vcc, s6, v83
	v_addc_co_u32_e32 v84, vcc, 0, v84, vcc
	global_load_dwordx4 v[106:109], v[85:86], off offset:256
	global_load_dwordx4 v[110:113], v[83:84], off offset:256
	v_mov_b32_e32 v83, v89
	v_lshlrev_b64 v[85:86], 4, v[82:83]
	v_add_co_u32_e32 v82, vcc, s12, v85
	v_addc_co_u32_e32 v83, vcc, v75, v86, vcc
	v_add_co_u32_e32 v114, vcc, s6, v82
	v_mov_b32_e32 v82, v89
	v_addc_co_u32_e32 v115, vcc, 0, v83, vcc
	v_lshlrev_b64 v[83:84], 4, v[81:82]
	v_add_co_u32_e32 v81, vcc, s12, v83
	v_addc_co_u32_e32 v82, vcc, v75, v84, vcc
	v_add_co_u32_e32 v81, vcc, s6, v81
	v_addc_co_u32_e32 v82, vcc, 0, v82, vcc
	global_load_dwordx4 v[114:117], v[114:115], off offset:256
	s_nop 0
	global_load_dwordx4 v[118:121], v[81:82], off offset:256
	v_mov_b32_e32 v81, v89
	v_lshlrev_b64 v[81:82], 4, v[80:81]
	v_add_co_u32_e32 v80, vcc, s12, v81
	v_addc_co_u32_e32 v88, vcc, v75, v82, vcc
	v_add_co_u32_e32 v122, vcc, s6, v80
	v_mov_b32_e32 v80, v89
	v_lshlrev_b64 v[79:80], 4, v[79:80]
	v_addc_co_u32_e32 v123, vcc, 0, v88, vcc
	v_add_co_u32_e32 v88, vcc, s12, v79
	v_addc_co_u32_e32 v75, vcc, v75, v80, vcc
	v_add_co_u32_e32 v88, vcc, s6, v88
	v_addc_co_u32_e32 v89, vcc, 0, v75, vcc
	global_load_dwordx4 v[122:125], v[122:123], off offset:256
	s_waitcnt vmcnt(5) lgkmcnt(13)
	v_mul_f64 v[130:131], v[62:63], v[104:105]
	global_load_dwordx4 v[126:129], v[88:89], off offset:256
	v_mul_f64 v[88:89], v[58:59], v[100:101]
	v_mul_f64 v[100:101], v[56:57], v[100:101]
	;; [unrolled: 1-line block ×3, first 2 shown]
	s_waitcnt vmcnt(0) lgkmcnt(0)
	s_barrier
	v_fma_f64 v[60:61], v[60:61], v[102:103], v[130:131]
	v_fma_f64 v[56:57], v[56:57], v[98:99], v[88:89]
	v_fma_f64 v[58:59], v[58:59], v[98:99], -v[100:101]
	v_fma_f64 v[62:63], v[62:63], v[102:103], -v[104:105]
	v_mul_f64 v[132:133], v[66:67], v[108:109]
	v_mul_f64 v[108:109], v[64:65], v[108:109]
	;; [unrolled: 1-line block ×4, first 2 shown]
	v_fma_f64 v[64:65], v[64:65], v[106:107], v[132:133]
	v_fma_f64 v[66:67], v[66:67], v[106:107], -v[108:109]
	v_fma_f64 v[68:69], v[68:69], v[110:111], v[134:135]
	v_fma_f64 v[70:71], v[70:71], v[110:111], -v[112:113]
	v_mul_f64 v[88:89], v[42:43], v[116:117]
	v_mul_f64 v[98:99], v[40:41], v[116:117]
	;; [unrolled: 1-line block ×4, first 2 shown]
	v_fma_f64 v[88:89], v[40:41], v[114:115], v[88:89]
	v_fma_f64 v[98:99], v[42:43], v[114:115], -v[98:99]
	v_fma_f64 v[100:101], v[44:45], v[118:119], v[100:101]
	v_fma_f64 v[102:103], v[46:47], v[118:119], -v[102:103]
	v_add_f64 v[40:41], v[28:29], -v[56:57]
	v_add_f64 v[42:43], v[30:31], -v[58:59]
	;; [unrolled: 1-line block ×8, first 2 shown]
	v_fma_f64 v[28:29], v[28:29], 2.0, -v[40:41]
	v_fma_f64 v[30:31], v[30:31], 2.0, -v[42:43]
	;; [unrolled: 1-line block ×3, first 2 shown]
	v_mul_f64 v[104:105], v[50:51], v[124:125]
	v_mul_f64 v[106:107], v[48:49], v[124:125]
	v_fma_f64 v[38:39], v[38:39], 2.0, -v[46:47]
	v_fma_f64 v[16:17], v[16:17], 2.0, -v[56:57]
	;; [unrolled: 1-line block ×5, first 2 shown]
	v_fma_f64 v[104:105], v[48:49], v[122:123], v[104:105]
	v_fma_f64 v[106:107], v[50:51], v[122:123], -v[106:107]
	v_add_f64 v[48:49], v[32:33], -v[64:65]
	v_add_f64 v[50:51], v[34:35], -v[66:67]
	v_mul_f64 v[108:109], v[54:55], v[128:129]
	v_mul_f64 v[110:111], v[52:53], v[128:129]
	v_add_f64 v[64:65], v[20:21], -v[104:105]
	v_add_f64 v[66:67], v[22:23], -v[106:107]
	v_fma_f64 v[32:33], v[32:33], 2.0, -v[48:49]
	v_fma_f64 v[34:35], v[34:35], 2.0, -v[50:51]
	v_fma_f64 v[108:109], v[52:53], v[126:127], v[108:109]
	v_fma_f64 v[110:111], v[54:55], v[126:127], -v[110:111]
	v_add_f64 v[52:53], v[24:25], -v[68:69]
	v_add_f64 v[54:55], v[26:27], -v[70:71]
	v_fma_f64 v[20:21], v[20:21], 2.0, -v[64:65]
	v_fma_f64 v[22:23], v[22:23], 2.0, -v[66:67]
	v_add_f64 v[68:69], v[8:9], -v[108:109]
	v_add_f64 v[70:71], v[10:11], -v[110:111]
	v_fma_f64 v[24:25], v[24:25], 2.0, -v[52:53]
	v_fma_f64 v[26:27], v[26:27], 2.0, -v[54:55]
	;; [unrolled: 1-line block ×4, first 2 shown]
	ds_write_b128 v153, v[28:31]
	ds_write_b128 v153, v[40:43] offset:4624
	ds_write_b128 v160, v[36:39]
	ds_write_b128 v160, v[44:47] offset:4624
	;; [unrolled: 2-line block ×8, first 2 shown]
	s_and_saveexec_b64 s[6:7], s[2:3]
	s_cbranch_execz .LBB0_16
; %bb.15:
	v_mov_b32_e32 v88, 0
	v_lshlrev_b64 v[8:9], 4, v[87:88]
	v_mov_b32_e32 v10, s13
	v_add_co_u32_e32 v8, vcc, s12, v8
	v_addc_co_u32_e32 v9, vcc, v10, v9, vcc
	v_add_co_u32_e32 v8, vcc, 0x1000, v8
	v_addc_co_u32_e32 v9, vcc, 0, v9, vcc
	global_load_dwordx4 v[8:11], v[8:9], off offset:256
	s_waitcnt vmcnt(0)
	v_mul_f64 v[12:13], v[0:1], v[10:11]
	v_mul_f64 v[10:11], v[2:3], v[10:11]
	v_fma_f64 v[2:3], v[2:3], v[8:9], -v[12:13]
	v_fma_f64 v[0:1], v[0:1], v[8:9], v[10:11]
	v_add_f64 v[2:3], v[6:7], -v[2:3]
	v_add_f64 v[0:1], v[4:5], -v[0:1]
	v_fma_f64 v[6:7], v[6:7], 2.0, -v[2:3]
	v_fma_f64 v[4:5], v[4:5], 2.0, -v[0:1]
	ds_write_b128 v153, v[4:7] offset:4352
	ds_write_b128 v153, v[0:3] offset:8976
.LBB0_16:
	s_or_b64 exec, exec, s[6:7]
	s_waitcnt lgkmcnt(0)
	s_barrier
	ds_read_b128 v[8:11], v151
	s_add_u32 s8, s12, 0x2310
	s_addc_u32 s9, s13, 0
	v_sub_u32_e32 v12, v150, v152
	v_cmp_ne_u32_e32 vcc, 0, v74
                                        ; implicit-def: $vgpr6_vgpr7
                                        ; implicit-def: $vgpr2_vgpr3
	s_and_saveexec_b64 s[6:7], vcc
	s_xor_b64 s[6:7], exec, s[6:7]
	s_cbranch_execz .LBB0_18
; %bb.17:
	v_mov_b32_e32 v1, s9
	v_add_co_u32_e32 v0, vcc, s8, v96
	v_addc_co_u32_e32 v1, vcc, v1, v97, vcc
	global_load_dwordx4 v[13:16], v[0:1], off
	ds_read_b128 v[0:3], v12 offset:9248
	s_waitcnt lgkmcnt(0)
	v_add_f64 v[4:5], v[8:9], -v[0:1]
	v_add_f64 v[6:7], v[10:11], v[2:3]
	v_add_f64 v[2:3], v[10:11], -v[2:3]
	v_add_f64 v[0:1], v[8:9], v[0:1]
	v_mul_f64 v[10:11], v[4:5], 0.5
	v_mul_f64 v[4:5], v[6:7], 0.5
	;; [unrolled: 1-line block ×3, first 2 shown]
	s_waitcnt vmcnt(0)
	v_mul_f64 v[6:7], v[10:11], v[15:16]
	v_fma_f64 v[8:9], v[4:5], v[15:16], v[2:3]
	v_fma_f64 v[15:16], v[4:5], v[15:16], -v[2:3]
	v_fma_f64 v[17:18], v[0:1], 0.5, v[6:7]
	v_fma_f64 v[6:7], v[0:1], 0.5, -v[6:7]
	v_fma_f64 v[2:3], -v[13:14], v[10:11], v[8:9]
                                        ; implicit-def: $vgpr8_vgpr9
	v_fma_f64 v[0:1], v[4:5], v[13:14], v[17:18]
	v_fma_f64 v[4:5], -v[4:5], v[13:14], v[6:7]
	v_fma_f64 v[6:7], -v[13:14], v[10:11], v[15:16]
.LBB0_18:
	s_andn2_saveexec_b64 s[6:7], s[6:7]
	s_cbranch_execz .LBB0_20
; %bb.19:
	s_waitcnt lgkmcnt(0)
	v_add_f64 v[0:1], v[8:9], v[10:11]
	ds_read_b64 v[6:7], v150 offset:4632
	v_add_f64 v[4:5], v[8:9], -v[10:11]
	v_mov_b32_e32 v2, 0
	v_mov_b32_e32 v3, 0
	s_waitcnt lgkmcnt(0)
	v_xor_b32_e32 v7, 0x80000000, v7
	ds_write_b64 v150, v[6:7] offset:4632
	v_mov_b32_e32 v7, v3
	v_mov_b32_e32 v6, v2
.LBB0_20:
	s_or_b64 exec, exec, s[6:7]
	s_waitcnt lgkmcnt(0)
	v_mov_b32_e32 v9, s9
	v_add_co_u32_e32 v8, vcc, s8, v94
	v_addc_co_u32_e32 v9, vcc, v9, v95, vcc
	global_load_dwordx4 v[8:11], v[8:9], off
	v_mov_b32_e32 v14, s9
	v_add_co_u32_e32 v13, vcc, s8, v92
	v_addc_co_u32_e32 v14, vcc, v14, v93, vcc
	global_load_dwordx4 v[13:16], v[13:14], off
	ds_write_b128 v151, v[0:3]
	ds_write_b128 v12, v[4:7] offset:9248
	ds_read_b128 v[0:3], v160
	ds_read_b128 v[4:7], v12 offset:8704
	v_mov_b32_e32 v25, s9
	s_waitcnt lgkmcnt(0)
	v_add_f64 v[17:18], v[0:1], -v[4:5]
	v_add_f64 v[19:20], v[2:3], v[6:7]
	v_add_f64 v[2:3], v[2:3], -v[6:7]
	v_add_f64 v[0:1], v[0:1], v[4:5]
	v_mul_f64 v[17:18], v[17:18], 0.5
	v_mul_f64 v[19:20], v[19:20], 0.5
	v_mul_f64 v[2:3], v[2:3], 0.5
	s_waitcnt vmcnt(1)
	v_mul_f64 v[4:5], v[17:18], v[10:11]
	v_fma_f64 v[6:7], v[19:20], v[10:11], v[2:3]
	v_fma_f64 v[10:11], v[19:20], v[10:11], -v[2:3]
	v_fma_f64 v[21:22], v[0:1], 0.5, v[4:5]
	v_fma_f64 v[23:24], v[0:1], 0.5, -v[4:5]
	v_add_co_u32_e32 v0, vcc, s8, v90
	v_addc_co_u32_e32 v1, vcc, v25, v91, vcc
	global_load_dwordx4 v[0:3], v[0:1], off
	v_fma_f64 v[6:7], -v[8:9], v[17:18], v[6:7]
	v_fma_f64 v[4:5], v[19:20], v[8:9], v[21:22]
	v_fma_f64 v[10:11], -v[8:9], v[17:18], v[10:11]
	v_fma_f64 v[8:9], -v[19:20], v[8:9], v[23:24]
	ds_write_b128 v160, v[4:7]
	ds_write_b128 v12, v[8:11] offset:8704
	ds_read_b128 v[4:7], v158
	ds_read_b128 v[8:11], v12 offset:8160
	s_waitcnt lgkmcnt(0)
	v_add_f64 v[17:18], v[4:5], -v[8:9]
	v_add_f64 v[19:20], v[6:7], v[10:11]
	v_add_f64 v[6:7], v[6:7], -v[10:11]
	v_add_f64 v[4:5], v[4:5], v[8:9]
	v_mul_f64 v[17:18], v[17:18], 0.5
	v_mul_f64 v[19:20], v[19:20], 0.5
	v_mul_f64 v[6:7], v[6:7], 0.5
	s_waitcnt vmcnt(1)
	v_mul_f64 v[8:9], v[17:18], v[15:16]
	v_fma_f64 v[10:11], v[19:20], v[15:16], v[6:7]
	v_fma_f64 v[15:16], v[19:20], v[15:16], -v[6:7]
	v_fma_f64 v[21:22], v[4:5], 0.5, v[8:9]
	v_fma_f64 v[23:24], v[4:5], 0.5, -v[8:9]
	v_add_co_u32_e32 v4, vcc, s8, v85
	v_addc_co_u32_e32 v5, vcc, v25, v86, vcc
	global_load_dwordx4 v[4:7], v[4:5], off
	v_fma_f64 v[10:11], -v[13:14], v[17:18], v[10:11]
	v_fma_f64 v[8:9], v[19:20], v[13:14], v[21:22]
	v_fma_f64 v[15:16], -v[13:14], v[17:18], v[15:16]
	v_fma_f64 v[13:14], -v[19:20], v[13:14], v[23:24]
	ds_write_b128 v158, v[8:11]
	ds_write_b128 v12, v[13:16] offset:8160
	ds_read_b128 v[8:11], v161
	ds_read_b128 v[13:16], v12 offset:7616
	;; [unrolled: 25-line block ×5, first 2 shown]
	s_waitcnt lgkmcnt(0)
	v_add_f64 v[17:18], v[8:9], -v[13:14]
	v_add_f64 v[19:20], v[10:11], v[15:16]
	v_add_f64 v[10:11], v[10:11], -v[15:16]
	v_add_f64 v[8:9], v[8:9], v[13:14]
	v_mul_f64 v[15:16], v[17:18], 0.5
	v_mul_f64 v[17:18], v[19:20], 0.5
	;; [unrolled: 1-line block ×3, first 2 shown]
	s_waitcnt vmcnt(1)
	v_mul_f64 v[13:14], v[15:16], v[2:3]
	v_fma_f64 v[19:20], v[17:18], v[2:3], v[10:11]
	v_fma_f64 v[2:3], v[17:18], v[2:3], -v[10:11]
	v_fma_f64 v[21:22], v[8:9], 0.5, v[13:14]
	v_fma_f64 v[13:14], v[8:9], 0.5, -v[13:14]
	v_fma_f64 v[10:11], -v[0:1], v[15:16], v[19:20]
	v_fma_f64 v[2:3], -v[0:1], v[15:16], v[2:3]
	v_fma_f64 v[8:9], v[17:18], v[0:1], v[21:22]
	v_fma_f64 v[0:1], -v[17:18], v[0:1], v[13:14]
	ds_write_b128 v156, v[8:11]
	ds_write_b128 v12, v[0:3] offset:5984
	ds_read_b128 v[0:3], v155
	ds_read_b128 v[8:11], v12 offset:5440
	s_waitcnt lgkmcnt(0)
	v_add_f64 v[13:14], v[0:1], -v[8:9]
	v_add_f64 v[15:16], v[2:3], v[10:11]
	v_add_f64 v[2:3], v[2:3], -v[10:11]
	v_add_f64 v[0:1], v[0:1], v[8:9]
	v_mul_f64 v[10:11], v[13:14], 0.5
	v_mul_f64 v[13:14], v[15:16], 0.5
	;; [unrolled: 1-line block ×3, first 2 shown]
	s_waitcnt vmcnt(0)
	v_mul_f64 v[8:9], v[10:11], v[6:7]
	v_fma_f64 v[15:16], v[13:14], v[6:7], v[2:3]
	v_fma_f64 v[6:7], v[13:14], v[6:7], -v[2:3]
	v_fma_f64 v[17:18], v[0:1], 0.5, v[8:9]
	v_fma_f64 v[8:9], v[0:1], 0.5, -v[8:9]
	v_fma_f64 v[2:3], -v[4:5], v[10:11], v[15:16]
	v_fma_f64 v[6:7], -v[4:5], v[10:11], v[6:7]
	v_fma_f64 v[0:1], v[13:14], v[4:5], v[17:18]
	v_fma_f64 v[4:5], -v[13:14], v[4:5], v[8:9]
	ds_write_b128 v155, v[0:3]
	ds_write_b128 v12, v[4:7] offset:5440
	s_and_saveexec_b64 s[6:7], s[2:3]
	s_cbranch_execz .LBB0_22
; %bb.21:
	v_mov_b32_e32 v79, 0
	v_lshlrev_b64 v[0:1], 4, v[78:79]
	v_mov_b32_e32 v2, s9
	v_add_co_u32_e32 v0, vcc, s8, v0
	v_addc_co_u32_e32 v1, vcc, v2, v1, vcc
	global_load_dwordx4 v[0:3], v[0:1], off
	ds_read_b128 v[4:7], v154
	ds_read_b128 v[8:11], v12 offset:4896
	s_waitcnt lgkmcnt(0)
	v_add_f64 v[13:14], v[4:5], -v[8:9]
	v_add_f64 v[15:16], v[6:7], v[10:11]
	v_add_f64 v[6:7], v[6:7], -v[10:11]
	v_add_f64 v[4:5], v[4:5], v[8:9]
	v_mul_f64 v[10:11], v[13:14], 0.5
	v_mul_f64 v[13:14], v[15:16], 0.5
	;; [unrolled: 1-line block ×3, first 2 shown]
	s_waitcnt vmcnt(0)
	v_mul_f64 v[8:9], v[10:11], v[2:3]
	v_fma_f64 v[15:16], v[13:14], v[2:3], v[6:7]
	v_fma_f64 v[2:3], v[13:14], v[2:3], -v[6:7]
	v_fma_f64 v[6:7], v[4:5], 0.5, v[8:9]
	v_fma_f64 v[17:18], v[4:5], 0.5, -v[8:9]
	v_fma_f64 v[4:5], -v[0:1], v[10:11], v[15:16]
	v_fma_f64 v[8:9], -v[0:1], v[10:11], v[2:3]
	v_fma_f64 v[2:3], v[13:14], v[0:1], v[6:7]
	v_fma_f64 v[6:7], -v[13:14], v[0:1], v[17:18]
	ds_write_b128 v154, v[2:5]
	ds_write_b128 v12, v[6:9] offset:4896
.LBB0_22:
	s_or_b64 exec, exec, s[6:7]
	s_waitcnt lgkmcnt(0)
	s_barrier
	s_and_saveexec_b64 s[2:3], s[0:1]
	s_cbranch_execz .LBB0_25
; %bb.23:
	v_mul_lo_u32 v0, s5, v76
	v_mul_lo_u32 v3, s4, v77
	v_mad_u64_u32 v[1:2], s[0:1], s4, v76, 0
	v_mov_b32_e32 v7, s11
	v_mov_b32_e32 v75, 0
	v_add3_u32 v2, v2, v3, v0
	v_lshlrev_b64 v[1:2], 4, v[1:2]
	v_lshl_add_u32 v0, v74, 4, v150
	v_add_co_u32_e32 v1, vcc, s10, v1
	v_addc_co_u32_e32 v9, vcc, v7, v2, vcc
	v_lshlrev_b64 v[7:8], 4, v[72:73]
	ds_read_b128 v[3:6], v0
	v_add_co_u32_e32 v2, vcc, v1, v7
	v_addc_co_u32_e32 v1, vcc, v9, v8, vcc
	v_lshlrev_b64 v[7:8], 4, v[74:75]
	v_add_co_u32_e32 v11, vcc, v2, v7
	v_addc_co_u32_e32 v12, vcc, v1, v8, vcc
	ds_read_b128 v[7:10], v0 offset:544
	s_waitcnt lgkmcnt(1)
	global_store_dwordx4 v[11:12], v[3:6], off
	s_nop 0
	v_add_u32_e32 v3, 34, v74
	v_mov_b32_e32 v4, v75
	v_lshlrev_b64 v[3:4], 4, v[3:4]
	v_add_co_u32_e32 v3, vcc, v2, v3
	v_addc_co_u32_e32 v4, vcc, v1, v4, vcc
	s_waitcnt lgkmcnt(0)
	global_store_dwordx4 v[3:4], v[7:10], off
	ds_read_b128 v[3:6], v0 offset:1088
	v_add_u32_e32 v7, 0x44, v74
	v_mov_b32_e32 v8, v75
	v_lshlrev_b64 v[7:8], 4, v[7:8]
	v_add_co_u32_e32 v11, vcc, v2, v7
	v_addc_co_u32_e32 v12, vcc, v1, v8, vcc
	ds_read_b128 v[7:10], v0 offset:1632
	s_waitcnt lgkmcnt(1)
	global_store_dwordx4 v[11:12], v[3:6], off
	s_nop 0
	v_add_u32_e32 v3, 0x66, v74
	v_mov_b32_e32 v4, v75
	v_lshlrev_b64 v[3:4], 4, v[3:4]
	v_add_co_u32_e32 v3, vcc, v2, v3
	v_addc_co_u32_e32 v4, vcc, v1, v4, vcc
	s_waitcnt lgkmcnt(0)
	global_store_dwordx4 v[3:4], v[7:10], off
	ds_read_b128 v[3:6], v0 offset:2176
	v_add_u32_e32 v7, 0x88, v74
	v_mov_b32_e32 v8, v75
	;; [unrolled: 17-line block ×8, first 2 shown]
	v_lshlrev_b64 v[7:8], 4, v[7:8]
	v_add_co_u32_e32 v7, vcc, v2, v7
	v_addc_co_u32_e32 v8, vcc, v1, v8, vcc
	v_cmp_eq_u32_e32 vcc, 33, v74
	s_waitcnt lgkmcnt(0)
	global_store_dwordx4 v[7:8], v[3:6], off
	s_and_b64 exec, exec, vcc
	s_cbranch_execz .LBB0_25
; %bb.24:
	ds_read_b128 v[3:6], v0 offset:8720
	v_add_co_u32_e32 v0, vcc, 0x2000, v2
	v_addc_co_u32_e32 v1, vcc, 0, v1, vcc
	s_waitcnt lgkmcnt(0)
	global_store_dwordx4 v[0:1], v[3:6], off offset:1056
.LBB0_25:
	s_endpgm
	.section	.rodata,"a",@progbits
	.p2align	6, 0x0
	.amdhsa_kernel fft_rtc_back_len578_factors_17_17_2_wgs_238_tpt_34_halfLds_dp_op_CI_CI_unitstride_sbrr_R2C_dirReg
		.amdhsa_group_segment_fixed_size 0
		.amdhsa_private_segment_fixed_size 0
		.amdhsa_kernarg_size 104
		.amdhsa_user_sgpr_count 6
		.amdhsa_user_sgpr_private_segment_buffer 1
		.amdhsa_user_sgpr_dispatch_ptr 0
		.amdhsa_user_sgpr_queue_ptr 0
		.amdhsa_user_sgpr_kernarg_segment_ptr 1
		.amdhsa_user_sgpr_dispatch_id 0
		.amdhsa_user_sgpr_flat_scratch_init 0
		.amdhsa_user_sgpr_private_segment_size 0
		.amdhsa_uses_dynamic_stack 0
		.amdhsa_system_sgpr_private_segment_wavefront_offset 0
		.amdhsa_system_sgpr_workgroup_id_x 1
		.amdhsa_system_sgpr_workgroup_id_y 0
		.amdhsa_system_sgpr_workgroup_id_z 0
		.amdhsa_system_sgpr_workgroup_info 0
		.amdhsa_system_vgpr_workitem_id 0
		.amdhsa_next_free_vgpr 190
		.amdhsa_next_free_sgpr 60
		.amdhsa_reserve_vcc 1
		.amdhsa_reserve_flat_scratch 0
		.amdhsa_float_round_mode_32 0
		.amdhsa_float_round_mode_16_64 0
		.amdhsa_float_denorm_mode_32 3
		.amdhsa_float_denorm_mode_16_64 3
		.amdhsa_dx10_clamp 1
		.amdhsa_ieee_mode 1
		.amdhsa_fp16_overflow 0
		.amdhsa_exception_fp_ieee_invalid_op 0
		.amdhsa_exception_fp_denorm_src 0
		.amdhsa_exception_fp_ieee_div_zero 0
		.amdhsa_exception_fp_ieee_overflow 0
		.amdhsa_exception_fp_ieee_underflow 0
		.amdhsa_exception_fp_ieee_inexact 0
		.amdhsa_exception_int_div_zero 0
	.end_amdhsa_kernel
	.text
.Lfunc_end0:
	.size	fft_rtc_back_len578_factors_17_17_2_wgs_238_tpt_34_halfLds_dp_op_CI_CI_unitstride_sbrr_R2C_dirReg, .Lfunc_end0-fft_rtc_back_len578_factors_17_17_2_wgs_238_tpt_34_halfLds_dp_op_CI_CI_unitstride_sbrr_R2C_dirReg
                                        ; -- End function
	.section	.AMDGPU.csdata,"",@progbits
; Kernel info:
; codeLenInByte = 19032
; NumSgprs: 64
; NumVgprs: 190
; ScratchSize: 0
; MemoryBound: 0
; FloatMode: 240
; IeeeMode: 1
; LDSByteSize: 0 bytes/workgroup (compile time only)
; SGPRBlocks: 7
; VGPRBlocks: 47
; NumSGPRsForWavesPerEU: 64
; NumVGPRsForWavesPerEU: 190
; Occupancy: 1
; WaveLimiterHint : 1
; COMPUTE_PGM_RSRC2:SCRATCH_EN: 0
; COMPUTE_PGM_RSRC2:USER_SGPR: 6
; COMPUTE_PGM_RSRC2:TRAP_HANDLER: 0
; COMPUTE_PGM_RSRC2:TGID_X_EN: 1
; COMPUTE_PGM_RSRC2:TGID_Y_EN: 0
; COMPUTE_PGM_RSRC2:TGID_Z_EN: 0
; COMPUTE_PGM_RSRC2:TIDIG_COMP_CNT: 0
	.type	__hip_cuid_7e55d15ab01a9807,@object ; @__hip_cuid_7e55d15ab01a9807
	.section	.bss,"aw",@nobits
	.globl	__hip_cuid_7e55d15ab01a9807
__hip_cuid_7e55d15ab01a9807:
	.byte	0                               ; 0x0
	.size	__hip_cuid_7e55d15ab01a9807, 1

	.ident	"AMD clang version 19.0.0git (https://github.com/RadeonOpenCompute/llvm-project roc-6.4.0 25133 c7fe45cf4b819c5991fe208aaa96edf142730f1d)"
	.section	".note.GNU-stack","",@progbits
	.addrsig
	.addrsig_sym __hip_cuid_7e55d15ab01a9807
	.amdgpu_metadata
---
amdhsa.kernels:
  - .args:
      - .actual_access:  read_only
        .address_space:  global
        .offset:         0
        .size:           8
        .value_kind:     global_buffer
      - .offset:         8
        .size:           8
        .value_kind:     by_value
      - .actual_access:  read_only
        .address_space:  global
        .offset:         16
        .size:           8
        .value_kind:     global_buffer
      - .actual_access:  read_only
        .address_space:  global
        .offset:         24
        .size:           8
        .value_kind:     global_buffer
      - .actual_access:  read_only
        .address_space:  global
        .offset:         32
        .size:           8
        .value_kind:     global_buffer
      - .offset:         40
        .size:           8
        .value_kind:     by_value
      - .actual_access:  read_only
        .address_space:  global
        .offset:         48
        .size:           8
        .value_kind:     global_buffer
      - .actual_access:  read_only
        .address_space:  global
        .offset:         56
        .size:           8
        .value_kind:     global_buffer
      - .offset:         64
        .size:           4
        .value_kind:     by_value
      - .actual_access:  read_only
        .address_space:  global
        .offset:         72
        .size:           8
        .value_kind:     global_buffer
      - .actual_access:  read_only
        .address_space:  global
        .offset:         80
        .size:           8
        .value_kind:     global_buffer
      - .actual_access:  read_only
        .address_space:  global
        .offset:         88
        .size:           8
        .value_kind:     global_buffer
      - .actual_access:  write_only
        .address_space:  global
        .offset:         96
        .size:           8
        .value_kind:     global_buffer
    .group_segment_fixed_size: 0
    .kernarg_segment_align: 8
    .kernarg_segment_size: 104
    .language:       OpenCL C
    .language_version:
      - 2
      - 0
    .max_flat_workgroup_size: 238
    .name:           fft_rtc_back_len578_factors_17_17_2_wgs_238_tpt_34_halfLds_dp_op_CI_CI_unitstride_sbrr_R2C_dirReg
    .private_segment_fixed_size: 0
    .sgpr_count:     64
    .sgpr_spill_count: 0
    .symbol:         fft_rtc_back_len578_factors_17_17_2_wgs_238_tpt_34_halfLds_dp_op_CI_CI_unitstride_sbrr_R2C_dirReg.kd
    .uniform_work_group_size: 1
    .uses_dynamic_stack: false
    .vgpr_count:     190
    .vgpr_spill_count: 0
    .wavefront_size: 64
amdhsa.target:   amdgcn-amd-amdhsa--gfx906
amdhsa.version:
  - 1
  - 2
...

	.end_amdgpu_metadata
